;; amdgpu-corpus repo=ROCm/rocFFT kind=compiled arch=gfx1201 opt=O3
	.text
	.amdgcn_target "amdgcn-amd-amdhsa--gfx1201"
	.amdhsa_code_object_version 6
	.protected	bluestein_single_fwd_len408_dim1_half_op_CI_CI ; -- Begin function bluestein_single_fwd_len408_dim1_half_op_CI_CI
	.globl	bluestein_single_fwd_len408_dim1_half_op_CI_CI
	.p2align	8
	.type	bluestein_single_fwd_len408_dim1_half_op_CI_CI,@function
bluestein_single_fwd_len408_dim1_half_op_CI_CI: ; @bluestein_single_fwd_len408_dim1_half_op_CI_CI
; %bb.0:
	s_load_b128 s[12:15], s[0:1], 0x28
	v_mul_u32_u24_e32 v1, 0xf10, v0
	s_mov_b32 s2, exec_lo
	s_delay_alu instid0(VALU_DEP_1) | instskip(NEXT) | instid1(VALU_DEP_1)
	v_lshrrev_b32_e32 v1, 16, v1
	v_mad_co_u64_u32 v[23:24], null, ttmp9, 3, v[1:2]
	v_mov_b32_e32 v24, 0
                                        ; kill: def $vgpr2 killed $sgpr0 killed $exec
	s_wait_kmcnt 0x0
	s_delay_alu instid0(VALU_DEP_1)
	v_cmpx_gt_u64_e64 s[12:13], v[23:24]
	s_cbranch_execz .LBB0_15
; %bb.1:
	s_clause 0x1
	s_load_b128 s[4:7], s[0:1], 0x18
	s_load_b64 s[12:13], s[0:1], 0x0
	v_mul_lo_u16 v1, v1, 17
	s_delay_alu instid0(VALU_DEP_1) | instskip(NEXT) | instid1(VALU_DEP_1)
	v_sub_nc_u16 v18, v0, v1
	v_and_b32_e32 v151, 0xffff, v18
	s_delay_alu instid0(VALU_DEP_1)
	v_or_b32_e32 v15, 0xc0, v151
	v_or_b32_e32 v16, 0x120, v151
	;; [unrolled: 1-line block ×3, first 2 shown]
	s_wait_kmcnt 0x0
	s_load_b128 s[8:11], s[4:5], 0x0
	v_or_b32_e32 v19, 0x60, v151
	s_wait_kmcnt 0x0
	v_mad_co_u64_u32 v[0:1], null, s10, v23, 0
	v_mad_co_u64_u32 v[2:3], null, s8, v151, 0
	;; [unrolled: 1-line block ×5, first 2 shown]
	s_delay_alu instid0(VALU_DEP_4) | instskip(SKIP_4) | instid1(VALU_DEP_4)
	v_mad_co_u64_u32 v[12:13], null, s11, v23, v[1:2]
	v_lshlrev_b32_e32 v44, 2, v151
	v_mad_co_u64_u32 v[13:14], null, s9, v151, v[3:4]
	v_mad_co_u64_u32 v[10:11], null, s8, v19, 0
	s_mul_u64 s[2:3], s[8:9], 24
	v_mov_b32_e32 v1, v12
	s_clause 0x7
	global_load_b32 v107, v44, s[12:13]
	global_load_b32 v106, v44, s[12:13] offset:96
	global_load_b32 v104, v44, s[12:13] offset:192
	;; [unrolled: 1-line block ×7, first 2 shown]
	s_clause 0x1
	scratch_store_b32 off, v15, off offset:44
	scratch_store_b32 off, v16, off offset:12
	v_mad_co_u64_u32 v[14:15], null, s9, v15, v[5:6]
	v_mad_co_u64_u32 v[15:16], null, s9, v16, v[7:8]
	v_mov_b32_e32 v3, v13
	v_lshlrev_b64_e32 v[0:1], 2, v[0:1]
	v_mad_co_u64_u32 v[16:17], null, s9, v93, v[9:10]
	v_mov_b32_e32 v5, v14
	s_delay_alu instid0(VALU_DEP_4) | instskip(SKIP_2) | instid1(VALU_DEP_4)
	v_lshlrev_b64_e32 v[2:3], 2, v[2:3]
	v_mov_b32_e32 v7, v15
	v_add_co_u32 v12, vcc_lo, s14, v0
	v_lshlrev_b64_e32 v[4:5], 2, v[4:5]
	v_add_co_ci_u32_e32 v13, vcc_lo, s15, v1, vcc_lo
	s_delay_alu instid0(VALU_DEP_4) | instskip(NEXT) | instid1(VALU_DEP_4)
	v_lshlrev_b64_e32 v[6:7], 2, v[6:7]
	v_add_co_u32 v2, vcc_lo, v12, v2
	s_wait_alu 0xfffd
	s_delay_alu instid0(VALU_DEP_3)
	v_add_co_ci_u32_e32 v3, vcc_lo, v13, v3, vcc_lo
	v_mov_b32_e32 v9, v16
	v_add_co_u32 v4, vcc_lo, v12, v4
	s_wait_alu 0xfffd
	v_add_co_ci_u32_e32 v5, vcc_lo, v13, v5, vcc_lo
	v_add_co_u32 v6, vcc_lo, v12, v6
	v_lshlrev_b64_e32 v[0:1], 2, v[8:9]
	s_wait_alu 0xfffd
	v_add_co_ci_u32_e32 v7, vcc_lo, v13, v7, vcc_lo
	s_lshl_b64 s[16:17], s[2:3], 2
	global_load_b32 v8, v[2:3], off
	v_add_co_u32 v2, vcc_lo, v2, s16
	s_clause 0x8
	global_load_b32 v52, v44, s[12:13] offset:768
	global_load_b32 v50, v44, s[12:13] offset:864
	;; [unrolled: 1-line block ×9, first 2 shown]
	s_clause 0x1
	global_load_b32 v9, v[4:5], off
	global_load_b32 v6, v[6:7], off
	v_mad_co_u64_u32 v[4:5], null, s9, v19, v[11:12]
	s_wait_alu 0xfffd
	v_add_co_ci_u32_e32 v3, vcc_lo, s17, v3, vcc_lo
	v_add_co_u32 v0, vcc_lo, v12, v0
	s_wait_alu 0xfffd
	v_add_co_ci_u32_e32 v1, vcc_lo, v13, v1, vcc_lo
	scratch_store_b32 off, v19, off offset:76 ; 4-byte Folded Spill
	v_mov_b32_e32 v11, v4
	s_clause 0x1
	global_load_b32 v7, v[0:1], off
	global_load_b32 v14, v[2:3], off
	v_add_co_u32 v0, vcc_lo, v2, s16
	s_wait_alu 0xfffd
	v_add_co_ci_u32_e32 v1, vcc_lo, s17, v3, vcc_lo
	v_lshlrev_b64_e32 v[2:3], 2, v[10:11]
	s_mul_u64 s[2:3], s[8:9], 0xc0
	s_load_b64 s[10:11], s[0:1], 0x38
	global_load_b32 v15, v[0:1], off
	v_add_co_u32 v0, vcc_lo, v0, s16
	s_wait_alu 0xfffd
	v_add_co_ci_u32_e32 v1, vcc_lo, s17, v1, vcc_lo
	v_add_co_u32 v2, vcc_lo, v12, v2
	s_wait_alu 0xfffd
	v_add_co_ci_u32_e32 v3, vcc_lo, v13, v3, vcc_lo
	s_clause 0x1
	global_load_b32 v10, v[0:1], off
	global_load_b32 v11, v[2:3], off
	v_add_co_u32 v0, vcc_lo, v0, s2
	s_wait_alu 0xfffd
	v_add_co_ci_u32_e32 v1, vcc_lo, s3, v1, vcc_lo
	global_load_b32 v12, v[0:1], off
	v_add_co_u32 v0, vcc_lo, v0, s16
	s_wait_alu 0xfffd
	v_add_co_ci_u32_e32 v1, vcc_lo, s17, v1, vcc_lo
	s_delay_alu instid0(VALU_DEP_2) | instskip(SKIP_1) | instid1(VALU_DEP_2)
	v_add_co_u32 v2, vcc_lo, v0, s16
	s_wait_alu 0xfffd
	v_add_co_ci_u32_e32 v3, vcc_lo, s17, v1, vcc_lo
	global_load_b32 v13, v[0:1], off
	global_load_b32 v16, v[2:3], off
	v_add_co_u32 v0, vcc_lo, v2, s2
	s_wait_alu 0xfffd
	v_add_co_ci_u32_e32 v1, vcc_lo, s3, v3, vcc_lo
	s_delay_alu instid0(VALU_DEP_2) | instskip(SKIP_1) | instid1(VALU_DEP_2)
	v_add_co_u32 v2, vcc_lo, v0, s16
	s_wait_alu 0xfffd
	v_add_co_ci_u32_e32 v3, vcc_lo, s17, v1, vcc_lo
	global_load_b32 v17, v[0:1], off
	v_add_co_u32 v0, vcc_lo, v2, s16
	s_wait_alu 0xfffd
	v_add_co_ci_u32_e32 v1, vcc_lo, s17, v3, vcc_lo
	global_load_b32 v19, v[2:3], off
	;; [unrolled: 4-line block ×5, first 2 shown]
	global_load_b32 v5, v[0:1], off
	v_mul_hi_u32 v2, 0xaaaaaaab, v23
	v_cmp_gt_u16_e32 vcc_lo, 7, v18
	s_load_b128 s[4:7], s[6:7], 0x0
	v_add_co_u32 v21, s2, s12, v44
	s_wait_alu 0xf1ff
	v_add_co_ci_u32_e64 v22, null, s13, 0, s2
	s_delay_alu instid0(VALU_DEP_4) | instskip(NEXT) | instid1(VALU_DEP_1)
	v_lshrrev_b32_e32 v2, 1, v2
	v_lshl_add_u32 v2, v2, 1, v2
	s_delay_alu instid0(VALU_DEP_1) | instskip(NEXT) | instid1(VALU_DEP_1)
	v_sub_nc_u32_e32 v2, v23, v2
	v_mul_u32_u24_e32 v74, 0x198, v2
	s_delay_alu instid0(VALU_DEP_1) | instskip(NEXT) | instid1(VALU_DEP_1)
	v_lshlrev_b32_e32 v77, 2, v74
	v_add_nc_u32_e32 v70, v44, v77
	s_delay_alu instid0(VALU_DEP_1)
	v_add_nc_u32_e32 v2, 0x400, v70
	v_add_nc_u32_e32 v3, 0x200, v70
	s_wait_loadcnt 0x21
	v_lshrrev_b32_e32 v32, 16, v107
	s_wait_loadcnt 0x20
	v_lshrrev_b32_e32 v60, 16, v106
	;; [unrolled: 2-line block ×8, first 2 shown]
	scratch_store_b32 off, v53, off offset:84 ; 4-byte Folded Spill
	s_wait_loadcnt 0x18
	v_lshrrev_b32_e32 v34, 16, v52
	s_wait_loadcnt 0x17
	v_lshrrev_b32_e32 v51, 16, v50
	;; [unrolled: 2-line block ×5, first 2 shown]
	v_lshrrev_b32_e32 v18, 16, v8
	v_mul_f16_e32 v25, v32, v8
	scratch_store_b32 off, v34, off offset:80 ; 4-byte Folded Spill
	s_wait_loadcnt 0x10
	v_lshrrev_b32_e32 v36, 16, v35
	s_wait_loadcnt 0xf
	v_lshrrev_b32_e32 v26, 16, v9
	v_mul_f16_e32 v27, v34, v9
	s_wait_loadcnt 0xe
	v_lshrrev_b32_e32 v28, 16, v6
	v_mul_f16_e32 v29, v45, v6
	v_mul_f16_e32 v32, v32, v18
	v_fma_f16 v18, v107, v18, -v25
	v_mul_f16_e32 v34, v34, v26
	v_fma_f16 v26, v52, v26, -v27
	;; [unrolled: 2-line block ×3, first 2 shown]
	v_fmac_f16_e32 v32, v107, v8
	s_wait_loadcnt 0xd
	v_lshrrev_b32_e32 v30, 16, v7
	v_mul_f16_e32 v31, v36, v7
	s_wait_loadcnt 0xc
	v_lshrrev_b32_e32 v25, 16, v14
	v_mul_f16_e32 v33, v60, v14
	v_fmac_f16_e32 v27, v43, v6
	v_mul_f16_e32 v29, v36, v30
	v_fma_f16 v30, v35, v30, -v31
	v_mul_f16_e32 v8, v60, v25
	v_fma_f16 v25, v106, v25, -v33
	s_wait_loadcnt 0xb
	v_lshrrev_b32_e32 v31, 16, v15
	v_mul_f16_e32 v33, v59, v15
	v_fmac_f16_e32 v29, v35, v7
	v_fmac_f16_e32 v8, v106, v14
	;; [unrolled: 1-line block ×3, first 2 shown]
	v_mul_f16_e32 v7, v59, v31
	v_pack_b32_f16 v6, v32, v18
	v_fma_f16 v9, v104, v31, -v33
	v_pack_b32_f16 v27, v27, v28
	v_pack_b32_f16 v28, v29, v30
	s_wait_loadcnt 0xa
	v_lshrrev_b32_e32 v14, 16, v10
	v_mul_f16_e32 v18, v58, v10
	s_wait_loadcnt 0x9
	v_lshrrev_b32_e32 v31, 16, v11
	v_pack_b32_f16 v8, v8, v25
	v_fmac_f16_e32 v7, v104, v15
	v_mul_f16_e32 v15, v58, v14
	v_mul_f16_e32 v32, v57, v11
	v_fma_f16 v14, v102, v14, -v18
	v_mul_f16_e32 v18, v57, v31
	s_wait_loadcnt 0x8
	v_lshrrev_b32_e32 v29, 16, v12
	v_mul_f16_e32 v30, v56, v12
	ds_store_2addr_b32 v70, v6, v8 offset1:24
	v_pack_b32_f16 v6, v7, v9
	v_fmac_f16_e32 v15, v102, v10
	v_mul_f16_e32 v7, v56, v29
	v_fma_f16 v25, v99, v31, -v32
	v_fmac_f16_e32 v18, v99, v11
	v_fma_f16 v8, v97, v29, -v30
	v_pack_b32_f16 v11, v15, v14
	v_fmac_f16_e32 v7, v97, v12
	s_wait_loadcnt 0x7
	v_lshrrev_b32_e32 v9, 16, v13
	v_mul_f16_e32 v10, v55, v13
	s_wait_loadcnt 0x6
	v_mul_f16_e32 v15, v54, v16
	v_pack_b32_f16 v14, v18, v25
	ds_store_2addr_b32 v70, v6, v11 offset0:48 offset1:72
	v_mul_f16_e32 v12, v55, v9
	v_fma_f16 v9, v95, v9, -v10
	v_lshrrev_b32_e32 v10, 16, v16
	v_pack_b32_f16 v6, v7, v8
	v_lshrrev_b32_e32 v42, 16, v41
	v_fmac_f16_e32 v12, v95, v13
	s_wait_loadcnt 0x5
	v_mul_f16_e32 v11, v51, v17
	v_mul_f16_e32 v7, v54, v10
	v_fma_f16 v8, v53, v10, -v15
	v_lshrrev_b32_e32 v10, 16, v17
	ds_store_2addr_b32 v70, v14, v6 offset0:96 offset1:120
	v_pack_b32_f16 v6, v12, v9
	v_fmac_f16_e32 v7, v53, v16
	s_wait_loadcnt 0x4
	v_mul_f16_e32 v12, v49, v19
	v_mul_f16_e32 v9, v51, v10
	v_fma_f16 v10, v50, v10, -v11
	v_lshrrev_b32_e32 v11, 16, v19
	v_pack_b32_f16 v7, v7, v8
	s_wait_loadcnt 0x3
	v_lshrrev_b32_e32 v8, 16, v20
	v_fmac_f16_e32 v9, v50, v17
	v_lshrrev_b32_e32 v40, 16, v39
	v_mul_f16_e32 v13, v49, v11
	v_fma_f16 v11, v48, v11, -v12
	v_mul_f16_e32 v12, v47, v20
	s_wait_loadcnt 0x2
	v_lshrrev_b32_e32 v14, 16, v24
	v_lshrrev_b32_e32 v38, 16, v37
	v_pack_b32_f16 v9, v9, v10
	v_mul_f16_e32 v10, v47, v8
	v_fma_f16 v8, v46, v8, -v12
	v_mul_f16_e32 v12, v42, v24
	s_wait_loadcnt 0x1
	v_lshrrev_b32_e32 v15, 16, v4
	s_wait_loadcnt 0x0
	v_lshrrev_b32_e32 v17, 16, v5
	v_mul_f16_e32 v16, v42, v14
	v_fmac_f16_e32 v13, v48, v19
	v_fmac_f16_e32 v10, v46, v20
	v_fma_f16 v12, v41, v14, -v12
	v_mul_f16_e32 v14, v40, v4
	v_mul_f16_e32 v18, v40, v15
	;; [unrolled: 1-line block ×4, first 2 shown]
	v_fmac_f16_e32 v16, v41, v24
	v_fma_f16 v14, v39, v15, -v14
	v_fmac_f16_e32 v18, v39, v4
	v_fma_f16 v4, v37, v17, -v19
	v_fmac_f16_e32 v20, v37, v5
	v_pack_b32_f16 v26, v34, v26
	v_pack_b32_f16 v5, v13, v11
	;; [unrolled: 1-line block ×6, first 2 shown]
	s_clause 0x11
	scratch_store_b32 off, v45, off offset:40
	scratch_store_b32 off, v46, off offset:48
	;; [unrolled: 1-line block ×6, first 2 shown]
	scratch_store_b32 off, v35, off
	scratch_store_b32 off, v54, off offset:88
	scratch_store_b32 off, v47, off offset:52
	;; [unrolled: 1-line block ×11, first 2 shown]
	ds_store_2addr_b32 v70, v6, v7 offset0:144 offset1:168
	ds_store_2addr_b32 v70, v26, v9 offset0:192 offset1:216
	;; [unrolled: 1-line block ×5, first 2 shown]
	ds_store_b32 v70, v28 offset:1536
	s_and_saveexec_b32 s3, vcc_lo
	s_cbranch_execz .LBB0_3
; %bb.2:
	v_mad_co_u64_u32 v[0:1], null, 0xfffffaa4, s8, v[0:1]
	s_mul_i32 s2, s9, 0xfffffaa4
	s_wait_alu 0xfffe
	s_sub_co_i32 s2, s2, s8
	s_wait_alu 0xfffe
	s_delay_alu instid0(VALU_DEP_1) | instskip(NEXT) | instid1(VALU_DEP_2)
	v_add_nc_u32_e32 v1, s2, v1
	v_add_co_u32 v4, s2, v0, s16
	s_wait_alu 0xf1ff
	s_delay_alu instid0(VALU_DEP_2)
	v_add_co_ci_u32_e64 v5, s2, s17, v1, s2
	s_clause 0x7
	global_load_b32 v8, v[21:22], off offset:68
	global_load_b32 v9, v[21:22], off offset:164
	;; [unrolled: 1-line block ×8, first 2 shown]
	global_load_b32 v16, v[0:1], off
	global_load_b32 v17, v[4:5], off
	s_clause 0x7
	global_load_b32 v18, v[21:22], off offset:836
	global_load_b32 v19, v[21:22], off offset:932
	;; [unrolled: 1-line block ×8, first 2 shown]
	v_add_co_u32 v0, s2, v4, s16
	s_wait_alu 0xf1ff
	v_add_co_ci_u32_e64 v1, s2, s17, v5, s2
	global_load_b32 v29, v[21:22], off offset:1604
	v_add_co_u32 v4, s2, v0, s16
	s_wait_alu 0xf1ff
	v_add_co_ci_u32_e64 v5, s2, s17, v1, s2
	global_load_b32 v30, v[0:1], off
	v_add_co_u32 v0, s2, v4, s16
	s_wait_alu 0xf1ff
	v_add_co_ci_u32_e64 v1, s2, s17, v5, s2
	global_load_b32 v31, v[4:5], off
	global_load_b32 v32, v[0:1], off
	v_add_co_u32 v0, s2, v0, s16
	s_wait_alu 0xf1ff
	v_add_co_ci_u32_e64 v1, s2, s17, v1, s2
	s_delay_alu instid0(VALU_DEP_2) | instskip(SKIP_1) | instid1(VALU_DEP_2)
	v_add_co_u32 v4, s2, v0, s16
	s_wait_alu 0xf1ff
	v_add_co_ci_u32_e64 v5, s2, s17, v1, s2
	global_load_b32 v33, v[0:1], off
	v_add_co_u32 v0, s2, v4, s16
	s_wait_alu 0xf1ff
	v_add_co_ci_u32_e64 v1, s2, s17, v5, s2
	global_load_b32 v34, v[4:5], off
	global_load_b32 v35, v[0:1], off
	v_add_co_u32 v0, s2, v0, s16
	s_wait_alu 0xf1ff
	v_add_co_ci_u32_e64 v1, s2, s17, v1, s2
	s_delay_alu instid0(VALU_DEP_2) | instskip(SKIP_1) | instid1(VALU_DEP_2)
	v_add_co_u32 v4, s2, v0, s16
	s_wait_alu 0xf1ff
	v_add_co_ci_u32_e64 v5, s2, s17, v1, s2
	global_load_b32 v36, v[0:1], off
	global_load_b32 v37, v[4:5], off
	v_add_co_u32 v0, s2, v4, s16
	s_wait_alu 0xf1ff
	v_add_co_ci_u32_e64 v1, s2, s17, v5, s2
	s_delay_alu instid0(VALU_DEP_2) | instskip(SKIP_1) | instid1(VALU_DEP_2)
	v_add_co_u32 v4, s2, v0, s16
	s_wait_alu 0xf1ff
	v_add_co_ci_u32_e64 v5, s2, s17, v1, s2
	global_load_b32 v38, v[0:1], off
	v_add_co_u32 v0, s2, v4, s16
	s_wait_alu 0xf1ff
	v_add_co_ci_u32_e64 v1, s2, s17, v5, s2
	global_load_b32 v39, v[4:5], off
	;; [unrolled: 4-line block ×4, first 2 shown]
	v_add_co_u32 v4, s2, v0, s16
	s_wait_alu 0xf1ff
	v_add_co_ci_u32_e64 v5, s2, s17, v1, s2
	s_delay_alu instid0(VALU_DEP_2) | instskip(SKIP_1) | instid1(VALU_DEP_2)
	v_add_co_u32 v6, s2, v4, s16
	s_wait_alu 0xf1ff
	v_add_co_ci_u32_e64 v7, s2, s17, v5, s2
	global_load_b32 v0, v[0:1], off
	global_load_b32 v1, v[4:5], off
	global_load_b32 v4, v[6:7], off
	s_wait_loadcnt 0x21
	v_lshrrev_b32_e32 v5, 16, v8
	s_wait_loadcnt 0x20
	v_lshrrev_b32_e32 v6, 16, v9
	;; [unrolled: 2-line block ×9, first 2 shown]
	v_mul_f16_e32 v58, v5, v16
	s_wait_loadcnt 0x18
	v_lshrrev_b32_e32 v59, 16, v17
	v_mul_f16_e32 v61, v6, v17
	s_wait_loadcnt 0x17
	v_lshrrev_b32_e32 v49, 16, v18
	v_mul_f16_e32 v5, v5, v54
	v_fma_f16 v54, v8, v54, -v58
	v_mul_f16_e32 v6, v6, v59
	s_wait_loadcnt 0x16
	v_lshrrev_b32_e32 v50, 16, v19
	s_wait_loadcnt 0x15
	v_lshrrev_b32_e32 v51, 16, v20
	v_fmac_f16_e32 v5, v8, v16
	v_fma_f16 v16, v9, v59, -v61
	v_fmac_f16_e32 v6, v9, v17
	s_wait_loadcnt 0x14
	v_lshrrev_b32_e32 v52, 16, v24
	s_wait_loadcnt 0x13
	v_lshrrev_b32_e32 v53, 16, v25
	v_pack_b32_f16 v5, v5, v54
	s_wait_loadcnt 0x12
	v_lshrrev_b32_e32 v55, 16, v26
	v_pack_b32_f16 v6, v6, v16
	s_wait_loadcnt 0x11
	v_lshrrev_b32_e32 v56, 16, v27
	s_wait_loadcnt 0xe
	v_lshrrev_b32_e32 v8, 16, v30
	v_mul_f16_e32 v58, v7, v30
	v_lshrrev_b32_e32 v57, 16, v28
	ds_store_2addr_b32 v70, v5, v6 offset0:17 offset1:41
	v_lshrrev_b32_e32 v60, 16, v29
	v_mul_f16_e32 v7, v7, v8
	s_wait_loadcnt 0xd
	v_lshrrev_b32_e32 v9, 16, v31
	v_mul_f16_e32 v17, v42, v31
	v_fma_f16 v8, v10, v8, -v58
	s_wait_loadcnt 0xc
	v_lshrrev_b32_e32 v16, 16, v32
	v_fmac_f16_e32 v7, v10, v30
	v_mul_f16_e32 v10, v42, v9
	v_fma_f16 v9, v11, v9, -v17
	v_mul_f16_e32 v17, v43, v32
	v_mul_f16_e32 v6, v43, v16
	v_pack_b32_f16 v5, v7, v8
	v_fmac_f16_e32 v10, v11, v31
	s_wait_loadcnt 0xb
	v_lshrrev_b32_e32 v7, 16, v33
	v_mul_f16_e32 v8, v45, v33
	v_fma_f16 v11, v12, v16, -v17
	v_fmac_f16_e32 v6, v12, v32
	v_pack_b32_f16 v9, v10, v9
	v_mul_f16_e32 v10, v45, v7
	v_fma_f16 v7, v13, v7, -v8
	s_wait_loadcnt 0xa
	v_lshrrev_b32_e32 v8, 16, v34
	v_mul_f16_e32 v12, v46, v34
	ds_store_2addr_b32 v70, v5, v9 offset0:65 offset1:89
	v_pack_b32_f16 v5, v6, v11
	v_fmac_f16_e32 v10, v13, v33
	v_mul_f16_e32 v6, v46, v8
	s_wait_loadcnt 0x9
	v_lshrrev_b32_e32 v9, 16, v35
	v_mul_f16_e32 v11, v48, v35
	v_fma_f16 v8, v14, v8, -v12
	v_pack_b32_f16 v7, v10, v7
	v_fmac_f16_e32 v6, v14, v34
	v_mul_f16_e32 v10, v48, v9
	v_fma_f16 v9, v15, v9, -v11
	s_wait_loadcnt 0x8
	v_lshrrev_b32_e32 v11, 16, v36
	v_mul_f16_e32 v12, v49, v36
	ds_store_2addr_b32 v70, v5, v7 offset0:113 offset1:137
	v_pack_b32_f16 v5, v6, v8
	v_fmac_f16_e32 v10, v15, v35
	v_mul_f16_e32 v6, v49, v11
	s_wait_loadcnt 0x7
	v_lshrrev_b32_e32 v7, 16, v37
	v_mul_f16_e32 v8, v50, v37
	v_fma_f16 v11, v18, v11, -v12
	v_pack_b32_f16 v9, v10, v9
	v_fmac_f16_e32 v6, v18, v36
	;; [unrolled: 15-line block ×3, first 2 shown]
	v_mul_f16_e32 v10, v52, v9
	v_fma_f16 v9, v24, v9, -v11
	s_wait_loadcnt 0x4
	v_lshrrev_b32_e32 v11, 16, v40
	v_mul_f16_e32 v12, v53, v40
	v_pack_b32_f16 v6, v6, v8
	v_fmac_f16_e32 v10, v24, v39
	s_wait_loadcnt 0x3
	v_lshrrev_b32_e32 v8, 16, v41
	v_mul_f16_e32 v14, v55, v41
	v_mul_f16_e32 v13, v53, v11
	v_fma_f16 v11, v25, v11, -v12
	v_pack_b32_f16 v9, v10, v9
	v_mul_f16_e32 v10, v55, v8
	v_fma_f16 v8, v26, v8, -v14
	s_wait_loadcnt 0x2
	v_lshrrev_b32_e32 v12, 16, v0
	v_mul_f16_e32 v14, v56, v0
	s_wait_loadcnt 0x1
	v_lshrrev_b32_e32 v15, 16, v1
	s_wait_loadcnt 0x0
	v_lshrrev_b32_e32 v16, 16, v4
	v_mul_f16_e32 v20, v60, v4
	v_mul_f16_e32 v17, v56, v12
	v_fma_f16 v12, v27, v12, -v14
	v_mul_f16_e32 v14, v57, v1
	v_mul_f16_e32 v18, v57, v15
	;; [unrolled: 1-line block ×3, first 2 shown]
	v_fmac_f16_e32 v13, v25, v40
	v_fmac_f16_e32 v10, v26, v41
	;; [unrolled: 1-line block ×3, first 2 shown]
	v_fma_f16 v0, v28, v15, -v14
	v_fmac_f16_e32 v18, v28, v1
	v_fmac_f16_e32 v19, v29, v4
	v_fma_f16 v1, v29, v16, -v20
	v_pack_b32_f16 v4, v13, v11
	v_pack_b32_f16 v8, v10, v8
	;; [unrolled: 1-line block ×5, first 2 shown]
	ds_store_2addr_b32 v70, v5, v7 offset0:209 offset1:233
	ds_store_2addr_b32 v2, v6, v9 offset0:1 offset1:25
	;; [unrolled: 1-line block ×4, first 2 shown]
	ds_store_b32 v70, v1 offset:1604
.LBB0_3:
	s_wait_alu 0xfffe
	s_or_b32 exec_lo, exec_lo, s3
	global_wb scope:SCOPE_SE
	s_wait_storecnt_dscnt 0x0
	s_wait_kmcnt 0x0
	s_barrier_signal -1
	s_barrier_wait -1
	global_inv scope:SCOPE_SE
	ds_load_2addr_b32 v[16:17], v70 offset1:24
	ds_load_2addr_b32 v[30:31], v70 offset0:48 offset1:72
	ds_load_2addr_b32 v[34:35], v70 offset0:96 offset1:120
	;; [unrolled: 1-line block ×7, first 2 shown]
	ds_load_b32 v112, v70 offset:1536
	s_load_b64 s[0:1], s[0:1], 0x8
	v_mov_b32_e32 v0, 0
                                        ; kill: def $vgpr1 killed $sgpr0 killed $exec
                                        ; implicit-def: $vgpr9
                                        ; implicit-def: $vgpr6
                                        ; implicit-def: $vgpr11
                                        ; implicit-def: $vgpr4
                                        ; implicit-def: $vgpr13
                                        ; implicit-def: $vgpr2
                                        ; implicit-def: $vgpr15
                                        ; implicit-def: $vgpr20
	s_and_saveexec_b32 s2, vcc_lo
	s_cbranch_execz .LBB0_5
; %bb.4:
	v_add_nc_u32_e32 v2, 0x400, v70
	ds_load_2addr_b32 v[0:1], v70 offset0:17 offset1:41
	ds_load_2addr_b32 v[14:15], v70 offset0:65 offset1:89
	ds_load_2addr_b32 v[12:13], v70 offset0:113 offset1:137
	ds_load_2addr_b32 v[10:11], v70 offset0:161 offset1:185
	ds_load_2addr_b32 v[8:9], v70 offset0:209 offset1:233
	ds_load_2addr_b32 v[6:7], v2 offset0:1 offset1:25
	ds_load_2addr_b32 v[4:5], v2 offset0:49 offset1:73
	ds_load_2addr_b32 v[2:3], v2 offset0:97 offset1:121
	ds_load_b32 v20, v70 offset:1604
.LBB0_5:
	s_wait_alu 0xfffe
	s_or_b32 exec_lo, exec_lo, s2
	s_wait_dscnt 0x0
	v_pk_add_f16 v45, v1, v20 neg_lo:[0,1] neg_hi:[0,1]
	v_pk_add_f16 v116, v14, v3 neg_lo:[0,1] neg_hi:[0,1]
	v_pk_add_f16 v42, v20, v1
	v_pk_add_f16 v48, v3, v14
	v_pk_add_f16 v118, v15, v2 neg_lo:[0,1] neg_hi:[0,1]
	v_lshrrev_b32_e32 v46, 16, v45
	v_lshrrev_b32_e32 v157, 16, v116
	v_pk_add_f16 v51, v2, v15
	v_pk_add_f16 v117, v12, v5 neg_lo:[0,1] neg_hi:[0,1]
	v_lshrrev_b32_e32 v156, 16, v118
	v_mul_f16_e32 v110, 0xb5c8, v46
	v_mul_f16_e64 v25, 0xb964, v157
	v_mul_f16_e32 v69, 0xb964, v46
	v_mul_f16_e64 v26, 0xbbf7, v157
	v_lshrrev_b32_e32 v155, 16, v117
	v_fmamk_f16 v24, v42, 0x3b76, v110
	scratch_store_b32 off, v25, off offset:92 ; 4-byte Folded Spill
	v_fmamk_f16 v25, v48, 0x39e9, v25
	scratch_store_b32 off, v26, off offset:104 ; 4-byte Folded Spill
	v_fmamk_f16 v26, v48, 0x2de8, v26
	v_add_f16_e32 v24, v24, v0
	v_pk_add_f16 v53, v5, v12
	v_mul_f16_e64 v60, 0xb1e1, v155
	v_pk_add_f16 v115, v13, v4 neg_lo:[0,1] neg_hi:[0,1]
	v_pk_add_f16 v56, v4, v13
	v_add_f16_e32 v24, v25, v24
	v_fmamk_f16 v25, v42, 0x39e9, v69
	v_pk_add_f16 v114, v10, v7 neg_lo:[0,1] neg_hi:[0,1]
	v_lshrrev_b32_e32 v128, 16, v115
	v_pk_add_f16 v59, v7, v10
	v_pk_add_f16 v113, v11, v6 neg_lo:[0,1] neg_hi:[0,1]
	v_add_f16_e32 v25, v25, v0
	v_lshrrev_b32_e32 v121, 16, v114
	v_mul_f16_e64 v63, 0x3836, v128
	v_pk_add_f16 v61, v6, v11
	v_lshrrev_b32_e32 v119, 16, v113
	v_add_f16_e32 v25, v26, v25
	v_mul_f16_e64 v26, 0xbb29, v156
	v_mul_f16_e32 v65, 0x3bb2, v121
	v_pk_add_f16 v120, v8, v9 neg_lo:[0,1] neg_hi:[0,1]
	v_mul_f16_e32 v62, 0xb836, v119
	v_mul_f16_e32 v66, 0x3b29, v119
	scratch_store_b32 off, v26, off offset:96 ; 4-byte Folded Spill
	v_fmamk_f16 v26, v51, 0x3722, v26
	v_lshrrev_b32_e32 v111, 16, v120
	v_pk_add_f16 v64, v9, v8
	v_mul_f16_e64 v138, 0xbb29, v46
	v_mul_f16_e64 v122, 0xba62, v157
	v_add_f16_e32 v24, v26, v24
	v_mul_f16_e64 v26, 0xba62, v156
	v_mul_f16_e32 v67, 0xb1e1, v111
	v_mul_f16_e32 v68, 0x35c8, v111
	v_fmamk_f16 v27, v48, 0xb8d2, v122
	v_mul_f16_e64 v145, 0xbbf7, v46
	scratch_store_b32 off, v26, off offset:112 ; 4-byte Folded Spill
	v_fmamk_f16 v26, v51, 0xb8d2, v26
	v_mul_f16_e64 v130, 0xb1e1, v157
	v_mul_f16_e64 v123, 0x31e1, v156
	;; [unrolled: 1-line block ×4, first 2 shown]
	v_add_f16_e32 v25, v26, v25
	v_mul_f16_e64 v26, 0xbbf7, v155
	v_fma_f16 v28, 0xbbdd, v48, v130
	v_mul_f16_e64 v132, 0x35c8, v155
	v_mul_f16_e64 v126, 0x3964, v128
	;; [unrolled: 1-line block ×3, first 2 shown]
	scratch_store_b32 off, v26, off offset:100 ; 4-byte Folded Spill
	v_fmamk_f16 v26, v53, 0x2de8, v26
	v_mul_f16_e32 v127, 0xb5c8, v121
	v_mul_f16_e64 v134, 0xb836, v121
	v_mul_f16_e64 v129, 0xbbf7, v119
	;; [unrolled: 1-line block ×3, first 2 shown]
	v_add_f16_e32 v24, v26, v24
	v_fmamk_f16 v26, v53, 0xbbdd, v60
	v_mul_f16_e32 v124, 0xb836, v111
	v_mul_f16_e64 v136, 0x3964, v111
	v_mul_f16_e64 v153, 0xbbb2, v46
	;; [unrolled: 1-line block ×3, first 2 shown]
	v_add_f16_e32 v25, v26, v25
	v_mul_f16_e64 v26, 0xbbb2, v128
	v_mul_f16_e64 v154, 0xba62, v46
	;; [unrolled: 1-line block ×3, first 2 shown]
	v_fma_f16 v29, 0xbacd, v48, v143
	v_mul_f16_e64 v144, 0x3964, v156
	scratch_store_b32 off, v26, off offset:108 ; 4-byte Folded Spill
	v_fmamk_f16 v26, v56, 0xb461, v26
	v_fma_f16 v137, 0xb461, v48, v100
	v_mul_f16_e64 v152, 0xb5c8, v156
	v_mul_f16_e64 v142, 0xbb29, v155
	;; [unrolled: 1-line block ×3, first 2 shown]
	v_add_f16_e32 v24, v26, v24
	v_fmamk_f16 v26, v56, 0xbacd, v63
	v_mul_f16_e64 v141, 0xb1e1, v128
	v_mul_f16_e64 v146, 0x3bf7, v128
	v_mul_f16_e64 v147, 0xb964, v121
	v_mul_f16_e64 v148, 0xb1e1, v119
	v_add_f16_e32 v25, v26, v25
	v_mul_f16_e32 v26, 0xba62, v121
	v_mul_f16_e64 v149, 0x3b29, v111
	v_pk_add_f16 v163, v40, v39 neg_lo:[0,1] neg_hi:[0,1]
	v_pk_add_f16 v186, v41, v38 neg_lo:[0,1] neg_hi:[0,1]
	;; [unrolled: 1-line block ×3, first 2 shown]
	v_mov_b32_e32 v72, v26
	v_fmamk_f16 v26, v59, 0xb8d2, v26
	v_pk_add_f16 v194, v34, v37 neg_lo:[0,1] neg_hi:[0,1]
	v_pk_add_f16 v192, v35, v36 neg_lo:[0,1] neg_hi:[0,1]
	;; [unrolled: 1-line block ×3, first 2 shown]
	v_lshrrev_b32_e32 v162, 16, v223
	v_add_f16_e32 v24, v26, v24
	v_fmamk_f16 v26, v59, 0xb461, v65
	v_pk_add_f16 v164, v112, v17
	v_lshrrev_b32_e32 v230, 16, v200
	v_mul_f16_e64 v165, 0xb836, v162
	v_pk_add_f16 v199, v31, v32 neg_lo:[0,1] neg_hi:[0,1]
	v_add_f16_e32 v25, v26, v25
	v_fmamk_f16 v26, v61, 0xbacd, v62
	v_mul_f16_e64 v183, 0x3b29, v230
	v_mul_f16_e64 v184, 0xb836, v223
	v_mul_f16_e64 v185, 0x3b29, v200
	v_lshrrev_b32_e32 v229, 16, v199
	v_add_f16_e32 v24, v26, v24
	v_fmamk_f16 v26, v61, 0x3722, v66
	v_mul_f16_e64 v181, 0xbbf7, v199
	v_lshrrev_b32_e32 v226, 16, v194
	v_mul_f16_e64 v179, 0xbbf7, v229
	v_mul_f16_e64 v175, 0x3a62, v194
	v_add_f16_e32 v26, v26, v25
	v_fmamk_f16 v25, v64, 0xbbdd, v67
	v_mul_f16_e64 v174, 0x3a62, v226
	v_lshrrev_b32_e32 v222, 16, v192
	v_mul_f16_e64 v173, 0xb5c8, v192
	v_lshrrev_b32_e32 v220, 16, v163
	v_add_f16_e32 v25, v25, v24
	v_fmamk_f16 v24, v64, 0x3b76, v68
	v_mul_f16_e64 v172, 0xb5c8, v222
	v_mul_f16_e64 v171, 0xb1e1, v163
	;; [unrolled: 1-line block ×3, first 2 shown]
	v_lshrrev_b32_e32 v216, 16, v186
	v_add_f16_e32 v24, v24, v26
	v_fma_f16 v26, 0x3722, v42, v138
	v_mul_f16_e64 v193, 0x3964, v186
	global_wb scope:SCOPE_SE
	s_wait_storecnt 0x0
	v_mul_f16_e64 v191, 0x3964, v216
	s_wait_kmcnt 0x0
	s_barrier_signal -1
	v_add_f16_e32 v26, v26, v0
	s_barrier_wait -1
	global_inv scope:SCOPE_SE
	v_mul_f16_e64 v170, 0xbb29, v162
	v_mul_f16_e64 v190, 0xba62, v199
	v_add_f16_e32 v26, v27, v26
	v_fma_f16 v27, 0x2de8, v42, v145
	v_mul_f16_e64 v198, 0xb1e1, v194
	v_fma_f16 v176, v164, 0x3722, -v170
	v_fmac_f16_e64 v170, 0x3722, v164
	v_mul_f16_e64 v203, 0x3836, v192
	v_add_f16_e32 v27, v27, v0
	v_mul_f16_e64 v206, 0x3bb2, v163
	v_add_f16_e64 v217, v16, v176
	v_mul_f16_e64 v176, 0xbbb2, v162
	v_mul_f16_e64 v208, 0x3b29, v186
	v_add_f16_e32 v27, v28, v27
	v_fmamk_f16 v28, v51, 0xbbdd, v123
	v_mul_f16_e64 v219, 0xbb29, v223
	v_fma_f16 v180, v164, 0xb461, -v176
	v_fmac_f16_e64 v176, 0xb461, v164
	v_mul_f16_e64 v247, 0xb1e1, v230
	v_add_f16_e32 v26, v28, v26
	v_fma_f16 v28, 0xb461, v51, v131
	v_add_f16_e64 v240, v16, v180
	v_add_f16_e64 v213, v16, v176
	v_mul_f16_e64 v180, 0xbbf7, v200
	v_mul_f16_e64 v248, 0xbbf7, v223
	v_add_f16_e32 v27, v28, v27
	v_fmamk_f16 v28, v53, 0xb461, v125
	v_mul_f16_e64 v249, 0xb1e1, v200
	v_mul_f16_e64 v250, 0x3bb2, v229
	;; [unrolled: 1-line block ×4, first 2 shown]
	v_add_f16_e32 v26, v28, v26
	v_fma_f16 v28, 0x3b76, v53, v132
	v_mul_f16_e64 v253, 0x35c8, v194
	v_mul_f16_e64 v254, 0xbb29, v222
	;; [unrolled: 1-line block ×4, first 2 shown]
	v_add_f16_e32 v27, v28, v27
	v_fmamk_f16 v28, v56, 0x39e9, v126
	v_mul_f16_e64 v75, 0xb836, v163
	v_mul_f16_e64 v82, 0x3a62, v186
	s_delay_alu instid0(VALU_DEP_3) | instskip(SKIP_1) | instid1(VALU_DEP_1)
	v_add_f16_e32 v26, v28, v26
	v_fma_f16 v28, 0x3722, v56, v133
	v_add_f16_e32 v27, v28, v27
	v_fmamk_f16 v28, v59, 0x3b76, v127
	s_delay_alu instid0(VALU_DEP_1) | instskip(SKIP_1) | instid1(VALU_DEP_1)
	v_add_f16_e32 v26, v28, v26
	v_fma_f16 v28, 0xbacd, v59, v134
	v_add_f16_e32 v27, v28, v27
	v_fma_f16 v28, 0x2de8, v61, v129
	s_delay_alu instid0(VALU_DEP_1) | instskip(SKIP_1) | instid1(VALU_DEP_1)
	v_add_f16_e32 v26, v28, v26
	v_fma_f16 v28, 0xb8d2, v61, v135
	v_add_f16_e32 v28, v28, v27
	v_fmamk_f16 v27, v64, 0xbacd, v124
	s_delay_alu instid0(VALU_DEP_1) | instskip(SKIP_1) | instid1(VALU_DEP_1)
	v_add_f16_e32 v27, v27, v26
	v_fma_f16 v26, 0x39e9, v64, v136
	v_add_f16_e32 v26, v26, v28
	v_fma_f16 v28, 0xb461, v42, v153
	s_delay_alu instid0(VALU_DEP_1) | instskip(NEXT) | instid1(VALU_DEP_1)
	v_add_f16_e32 v28, v28, v0
	v_add_f16_e32 v28, v29, v28
	v_fma_f16 v29, 0xb8d2, v42, v154
	s_delay_alu instid0(VALU_DEP_1) | instskip(NEXT) | instid1(VALU_DEP_1)
	v_add_f16_e32 v29, v29, v0
	v_add_f16_e64 v29, v137, v29
	v_fma_f16 v137, 0x39e9, v51, v144
	s_delay_alu instid0(VALU_DEP_1) | instskip(SKIP_1) | instid1(VALU_DEP_1)
	v_add_f16_e64 v28, v137, v28
	v_fma_f16 v137, 0x3b76, v51, v152
	v_add_f16_e64 v29, v137, v29
	v_fma_f16 v137, 0x3722, v53, v142
	s_delay_alu instid0(VALU_DEP_1) | instskip(SKIP_1) | instid1(VALU_DEP_1)
	v_add_f16_e64 v28, v137, v28
	v_fma_f16 v137, 0xbacd, v53, v150
	;; [unrolled: 5-line block ×3, first 2 shown]
	v_add_f16_e64 v29, v137, v29
	v_mul_f16_e64 v137, 0x3bf7, v121
	s_delay_alu instid0(VALU_DEP_1) | instskip(NEXT) | instid1(VALU_DEP_1)
	v_fma_f16 v139, 0x2de8, v59, v137
	v_add_f16_e64 v28, v139, v28
	v_fma_f16 v139, 0x39e9, v59, v147
	s_delay_alu instid0(VALU_DEP_1) | instskip(SKIP_1) | instid1(VALU_DEP_1)
	v_add_f16_e64 v29, v139, v29
	v_mul_f16_e64 v139, 0xb5c8, v119
	v_fma_f16 v140, 0x3b76, v61, v139
	s_delay_alu instid0(VALU_DEP_1) | instskip(SKIP_1) | instid1(VALU_DEP_1)
	v_add_f16_e64 v28, v140, v28
	v_fma_f16 v140, 0xbbdd, v61, v148
	v_add_f16_e64 v158, v140, v29
	v_mul_f16_e64 v140, 0xba62, v111
	s_delay_alu instid0(VALU_DEP_1) | instskip(NEXT) | instid1(VALU_DEP_1)
	v_fma_f16 v29, 0xb8d2, v64, v140
	v_add_f16_e32 v29, v29, v28
	v_fma_f16 v28, 0x3722, v64, v149
	s_delay_alu instid0(VALU_DEP_1) | instskip(SKIP_3) | instid1(VALU_DEP_3)
	v_add_f16_e64 v28, v28, v158
	v_pk_add_f16 v158, v16, v17
	v_fma_f16 v17, v164, 0xbacd, -v165
	v_fmac_f16_e64 v165, 0xbacd, v164
	v_pk_add_f16 v158, v158, v30
	s_delay_alu instid0(VALU_DEP_3) | instskip(NEXT) | instid1(VALU_DEP_3)
	v_add_f16_e32 v17, v16, v17
	v_add_f16_e64 v238, v16, v165
	s_delay_alu instid0(VALU_DEP_3) | instskip(NEXT) | instid1(VALU_DEP_1)
	v_pk_add_f16 v158, v158, v31
	v_pk_add_f16 v158, v158, v34
	s_delay_alu instid0(VALU_DEP_1) | instskip(NEXT) | instid1(VALU_DEP_1)
	v_pk_add_f16 v158, v158, v35
	v_pk_add_f16 v158, v158, v40
	s_delay_alu instid0(VALU_DEP_1) | instskip(SKIP_2) | instid1(VALU_DEP_3)
	v_pk_add_f16 v159, v158, v41
	v_pk_add_f16 v158, v39, v40
	;; [unrolled: 1-line block ×4, first 2 shown]
	s_delay_alu instid0(VALU_DEP_3) | instskip(NEXT) | instid1(VALU_DEP_2)
	v_pk_mul_f16 v204, 0xb8d2b461, v158
	v_pk_add_f16 v41, v41, v19
	s_delay_alu instid0(VALU_DEP_2) | instskip(NEXT) | instid1(VALU_DEP_2)
	v_pk_fma_f16 v205, 0x3bb2ba62, v163, v204 op_sel:[0,0,1] op_sel_hi:[1,1,0]
	v_pk_add_f16 v38, v41, v38
	s_delay_alu instid0(VALU_DEP_1) | instskip(SKIP_2) | instid1(VALU_DEP_3)
	v_pk_add_f16 v39, v38, v39
	v_pk_add_f16 v38, v37, v34
	;; [unrolled: 1-line block ×4, first 2 shown]
	s_delay_alu instid0(VALU_DEP_2) | instskip(NEXT) | instid1(VALU_DEP_2)
	v_pk_mul_f16 v197, 0xb461bacd, v34
	v_pk_add_f16 v36, v35, v37
	v_pk_add_f16 v35, v33, v30
	v_pk_add_f16 v30, v32, v31
	s_delay_alu instid0(VALU_DEP_4) | instskip(NEXT) | instid1(VALU_DEP_4)
	v_pk_fma_f16 v201, 0x3836bbb2, v192, v197 op_sel:[0,0,1] op_sel_hi:[1,1,0]
	v_pk_add_f16 v31, v36, v32
	s_delay_alu instid0(VALU_DEP_1) | instskip(SKIP_2) | instid1(VALU_DEP_3)
	v_pk_add_f16 v160, v31, v33
	v_fma_f16 v31, v35, 0x3722, -v183
	v_fmac_f16_e64 v183, 0x3722, v35
	v_pk_add_f16 v160, v160, v112
	s_delay_alu instid0(VALU_DEP_3) | instskip(SKIP_3) | instid1(VALU_DEP_3)
	v_add_f16_e32 v33, v31, v17
	v_lshrrev_b32_e32 v31, 16, v164
	v_lshrrev_b32_e32 v17, 16, v16
	v_mul_lo_u16 v112, v151, 17
	v_fma_f16 v32, 0xbacd, v31, v184
	s_delay_alu instid0(VALU_DEP_2) | instskip(NEXT) | instid1(VALU_DEP_2)
	v_and_b32_e32 v112, 0xffff, v112
	v_add_f16_e32 v36, v17, v32
	v_lshrrev_b32_e32 v32, 16, v35
	s_delay_alu instid0(VALU_DEP_3) | instskip(NEXT) | instid1(VALU_DEP_2)
	v_lshl_add_u32 v112, v112, 2, v77
	v_fma_f16 v37, 0x3722, v32, v185
	v_fma_f16 v227, 0xbbdd, v32, v249
	s_delay_alu instid0(VALU_DEP_2) | instskip(SKIP_2) | instid1(VALU_DEP_2)
	v_add_f16_e32 v36, v37, v36
	v_fma_f16 v37, v30, 0x2de8, -v179
	v_fmac_f16_e64 v179, 0x2de8, v30
	v_add_f16_e32 v37, v37, v33
	v_lshrrev_b32_e32 v33, 16, v30
	s_delay_alu instid0(VALU_DEP_1) | instskip(NEXT) | instid1(VALU_DEP_1)
	v_fma_f16 v39, 0x2de8, v33, v181
	v_add_f16_e32 v39, v39, v36
	v_fma_f16 v36, v38, 0xb8d2, -v174
	v_fmac_f16_e64 v174, 0xb8d2, v38
	s_delay_alu instid0(VALU_DEP_2) | instskip(SKIP_1) | instid1(VALU_DEP_1)
	v_add_f16_e32 v37, v36, v37
	v_lshrrev_b32_e32 v36, 16, v38
	v_fma_f16 v41, 0xb8d2, v36, v175
	s_delay_alu instid0(VALU_DEP_1) | instskip(SKIP_2) | instid1(VALU_DEP_2)
	v_add_f16_e32 v39, v41, v39
	v_fma_f16 v41, v34, 0x3b76, -v172
	v_fmac_f16_e64 v172, 0x3b76, v34
	v_add_f16_e32 v41, v41, v37
	v_lshrrev_b32_e32 v37, 16, v34
	s_delay_alu instid0(VALU_DEP_1) | instskip(NEXT) | instid1(VALU_DEP_1)
	v_fma_f16 v159, 0x3b76, v37, v173
	v_add_f16_e64 v159, v159, v39
	v_fma_f16 v39, v158, 0xbbdd, -v169
	v_fmac_f16_e64 v169, 0xbbdd, v158
	s_delay_alu instid0(VALU_DEP_2) | instskip(SKIP_1) | instid1(VALU_DEP_1)
	v_add_f16_e32 v41, v39, v41
	v_lshrrev_b32_e32 v39, 16, v158
	v_fma_f16 v161, 0xbbdd, v39, v171
	s_delay_alu instid0(VALU_DEP_1) | instskip(SKIP_2) | instid1(VALU_DEP_2)
	v_add_f16_e64 v159, v161, v159
	v_fma_f16 v161, v40, 0x39e9, -v191
	v_fmac_f16_e64 v191, 0x39e9, v40
	v_add_f16_e64 v161, v161, v41
	v_lshrrev_b32_e32 v41, 16, v40
	s_delay_alu instid0(VALU_DEP_1) | instskip(NEXT) | instid1(VALU_DEP_1)
	v_fma_f16 v166, 0x39e9, v41, v193
	v_add_f16_e64 v166, v166, v159
	v_pk_add_f16 v159, v18, v19 neg_lo:[0,1] neg_hi:[0,1]
	v_pk_add_f16 v18, v19, v18
	s_delay_alu instid0(VALU_DEP_2) | instskip(SKIP_1) | instid1(VALU_DEP_3)
	v_lshrrev_b32_e32 v237, 16, v159
	v_mul_f16_e64 v211, 0xbbb2, v159
	v_pk_mul_f16 v212, 0xbbdd3b76, v18
	s_delay_alu instid0(VALU_DEP_3) | instskip(NEXT) | instid1(VALU_DEP_1)
	v_mul_f16_e64 v209, 0xbbb2, v237
	v_fma_f16 v19, v18, 0xb461, -v209
	v_fmac_f16_e64 v209, 0xb461, v18
	s_delay_alu instid0(VALU_DEP_2) | instskip(SKIP_1) | instid1(VALU_DEP_1)
	v_add_f16_e64 v161, v19, v161
	v_lshrrev_b32_e32 v19, 16, v18
	v_fma_f16 v167, 0xb461, v19, v211
	s_delay_alu instid0(VALU_DEP_1) | instskip(NEXT) | instid1(VALU_DEP_1)
	v_add_f16_e64 v166, v167, v166
	v_pack_b32_f16 v161, v161, v166
	v_pk_mul_f16 v166, 0x3b7639e9, v164
	ds_store_2addr_b32 v112, v160, v161 offset1:7
	v_mul_f16_e64 v160, 0xb5c8, v162
	s_delay_alu instid0(VALU_DEP_1) | instskip(SKIP_1) | instid1(VALU_DEP_2)
	v_fma_f16 v161, v164, 0x3b76, -v160
	v_fmac_f16_e64 v160, 0x3b76, v164
	v_add_f16_e64 v168, v16, v161
	v_pk_fma_f16 v161, 0xb964b5c8, v223, v166 op_sel:[0,0,1] op_sel_hi:[1,1,0] neg_lo:[0,1,0] neg_hi:[0,1,0]
	v_pk_fma_f16 v166, 0xb964b5c8, v223, v166 op_sel:[0,0,1] op_sel_hi:[1,1,0]
	s_delay_alu instid0(VALU_DEP_4) | instskip(NEXT) | instid1(VALU_DEP_2)
	v_add_f16_e64 v160, v16, v160
	v_bfi_b32 v167, 0xffff, v166, v161
	s_delay_alu instid0(VALU_DEP_1) | instskip(SKIP_4) | instid1(VALU_DEP_2)
	v_pk_add_f16 v177, v16, v167 op_sel:[1,0] op_sel_hi:[0,1]
	v_pk_add_f16 v167, v16, v166 op_sel:[1,0] op_sel_hi:[0,1]
	v_add_f16_e64 v166, v16, v170
	v_mul_f16_e64 v170, 0xbbf7, v162
	v_mul_f16_e64 v162, 0xba62, v162
	v_fma_f16 v178, v164, 0x2de8, -v170
	v_fmac_f16_e64 v170, 0x2de8, v164
	s_delay_alu instid0(VALU_DEP_3)
	v_fma_f16 v182, v164, 0xb8d2, -v162
	v_fmac_f16_e64 v162, 0xb8d2, v164
	v_pk_mul_f16 v164, 0xbbdd, v164 op_sel_hi:[0,1]
	v_add_f16_e64 v221, v16, v178
	v_add_f16_e64 v214, v16, v170
	;; [unrolled: 1-line block ×4, first 2 shown]
	v_pk_fma_f16 v170, 0xb1e1, v223, v164 op_sel:[0,0,1] op_sel_hi:[0,1,0] neg_lo:[0,1,0] neg_hi:[0,1,0]
	v_pk_fma_f16 v164, 0xb1e1, v223, v164 op_sel:[0,0,1] op_sel_hi:[0,1,0]
	v_mul_f16_e64 v162, 0xb964, v230
	v_mul_f16_e64 v182, 0xb964, v223
	s_delay_alu instid0(VALU_DEP_4) | instskip(NEXT) | instid1(VALU_DEP_4)
	v_pk_add_f16 v242, v16, v170 op_sel:[1,0] op_sel_hi:[0,1]
	v_pk_add_f16 v243, v16, v164 op_sel:[1,0] op_sel_hi:[0,1]
	s_delay_alu instid0(VALU_DEP_4) | instskip(SKIP_3) | instid1(VALU_DEP_4)
	v_fma_f16 v16, v35, 0x39e9, -v162
	v_pk_mul_f16 v164, 0x39e92de8, v35
	v_fma_f16 v170, 0x2de8, v32, v180
	v_fmac_f16_e64 v162, 0x39e9, v35
	v_add_f16_e64 v165, v16, v168
	s_delay_alu instid0(VALU_DEP_4) | instskip(SKIP_1) | instid1(VALU_DEP_1)
	v_pk_fma_f16 v16, 0xbbf7b964, v200, v164 op_sel:[0,0,1] op_sel_hi:[1,1,0] neg_lo:[0,1,0] neg_hi:[0,1,0]
	v_pk_fma_f16 v178, 0xbbf7b964, v200, v164 op_sel:[0,0,1] op_sel_hi:[1,1,0]
	v_bfi_b32 v164, 0xffff, v178, v16
	s_delay_alu instid0(VALU_DEP_1) | instskip(SKIP_2) | instid1(VALU_DEP_2)
	v_pk_add_f16 v168, v164, v177
	v_fma_f16 v164, 0x39e9, v31, v182
	v_pk_mul_f16 v177, 0x3722b8d2, v30
	v_add_f16_e64 v164, v17, v164
	s_delay_alu instid0(VALU_DEP_2) | instskip(NEXT) | instid1(VALU_DEP_2)
	v_pk_fma_f16 v189, 0xba62bb29, v199, v177 op_sel:[0,0,1] op_sel_hi:[1,1,0]
	v_add_f16_e64 v170, v170, v164
	v_mul_f16_e64 v164, 0xbb29, v229
	s_delay_alu instid0(VALU_DEP_1) | instskip(SKIP_1) | instid1(VALU_DEP_2)
	v_fma_f16 v176, v30, 0x3722, -v164
	v_fmac_f16_e64 v164, 0x3722, v30
	v_add_f16_e64 v176, v176, v165
	v_pk_fma_f16 v165, 0xba62bb29, v199, v177 op_sel:[0,0,1] op_sel_hi:[1,1,0] neg_lo:[0,1,0] neg_hi:[0,1,0]
	s_delay_alu instid0(VALU_DEP_1) | instskip(NEXT) | instid1(VALU_DEP_1)
	v_bfi_b32 v177, 0xffff, v189, v165
	v_pk_add_f16 v177, v177, v168
	v_fma_f16 v168, 0xb8d2, v33, v190
	s_delay_alu instid0(VALU_DEP_1) | instskip(SKIP_1) | instid1(VALU_DEP_1)
	v_add_f16_e64 v187, v168, v170
	v_mul_f16_e64 v168, 0xbbf7, v226
	v_fma_f16 v170, v38, 0x2de8, -v168
	v_fmac_f16_e64 v168, 0x2de8, v38
	s_delay_alu instid0(VALU_DEP_2) | instskip(SKIP_1) | instid1(VALU_DEP_1)
	v_add_f16_e64 v188, v170, v176
	v_pk_mul_f16 v176, 0x2de8bbdd, v38
	v_pk_fma_f16 v170, 0xb1e1bbf7, v194, v176 op_sel:[0,0,1] op_sel_hi:[1,1,0] neg_lo:[0,1,0] neg_hi:[0,1,0]
	v_pk_fma_f16 v196, 0xb1e1bbf7, v194, v176 op_sel:[0,0,1] op_sel_hi:[1,1,0]
	s_delay_alu instid0(VALU_DEP_1) | instskip(NEXT) | instid1(VALU_DEP_1)
	v_bfi_b32 v176, 0xffff, v196, v170
	v_pk_add_f16 v195, v176, v177
	v_fma_f16 v176, 0xbbdd, v36, v198
	s_delay_alu instid0(VALU_DEP_1) | instskip(SKIP_1) | instid1(VALU_DEP_1)
	v_add_f16_e64 v187, v176, v187
	v_mul_f16_e64 v176, 0xbbb2, v222
	v_fma_f16 v177, v34, 0xb461, -v176
	v_fmac_f16_e64 v176, 0xb461, v34
	s_delay_alu instid0(VALU_DEP_2) | instskip(SKIP_1) | instid1(VALU_DEP_1)
	v_add_f16_e64 v188, v177, v188
	v_pk_fma_f16 v177, 0x3836bbb2, v192, v197 op_sel:[0,0,1] op_sel_hi:[1,1,0] neg_lo:[0,1,0] neg_hi:[0,1,0]
	v_bfi_b32 v197, 0xffff, v201, v177
	s_delay_alu instid0(VALU_DEP_1) | instskip(SKIP_1) | instid1(VALU_DEP_1)
	v_pk_add_f16 v195, v197, v195
	v_fma_f16 v197, 0xbacd, v37, v203
	v_add_f16_e64 v197, v197, v187
	v_mul_f16_e64 v187, 0xba62, v220
	s_delay_alu instid0(VALU_DEP_1) | instskip(SKIP_1) | instid1(VALU_DEP_2)
	v_fma_f16 v202, v158, 0xb8d2, -v187
	v_fmac_f16_e64 v187, 0xb8d2, v158
	v_add_f16_e64 v202, v202, v188
	v_pk_fma_f16 v188, 0x3bb2ba62, v163, v204 op_sel:[0,0,1] op_sel_hi:[1,1,0] neg_lo:[0,1,0] neg_hi:[0,1,0]
	s_delay_alu instid0(VALU_DEP_1) | instskip(NEXT) | instid1(VALU_DEP_1)
	v_bfi_b32 v204, 0xffff, v205, v188
	v_pk_add_f16 v204, v204, v195
	v_fma_f16 v195, 0xb461, v39, v206
	s_delay_alu instid0(VALU_DEP_1) | instskip(SKIP_1) | instid1(VALU_DEP_1)
	v_add_f16_e64 v210, v195, v197
	v_mul_f16_e64 v195, 0xb836, v216
	v_fma_f16 v197, v40, 0xbacd, -v195
	v_fmac_f16_e64 v195, 0xbacd, v40
	s_delay_alu instid0(VALU_DEP_2) | instskip(SKIP_1) | instid1(VALU_DEP_1)
	v_add_f16_e64 v215, v197, v202
	v_pk_mul_f16 v202, 0xbacd3722, v40
	v_pk_fma_f16 v197, 0x3b29b836, v186, v202 op_sel:[0,0,1] op_sel_hi:[1,1,0] neg_lo:[0,1,0] neg_hi:[0,1,0]
	v_pk_fma_f16 v207, 0x3b29b836, v186, v202 op_sel:[0,0,1] op_sel_hi:[1,1,0]
	s_delay_alu instid0(VALU_DEP_1) | instskip(NEXT) | instid1(VALU_DEP_1)
	v_bfi_b32 v202, 0xffff, v207, v197
	v_pk_add_f16 v204, v202, v204
	v_fma_f16 v202, 0x3722, v41, v208
	s_delay_alu instid0(VALU_DEP_1) | instskip(SKIP_2) | instid1(VALU_DEP_1)
	v_add_f16_e64 v218, v202, v210
	v_pk_fma_f16 v202, 0x35c8b1e1, v159, v212 op_sel:[0,0,1] op_sel_hi:[1,1,0] neg_lo:[0,1,0] neg_hi:[0,1,0]
	v_pk_fma_f16 v210, 0x35c8b1e1, v159, v212 op_sel:[0,0,1] op_sel_hi:[1,1,0]
	v_bfi_b32 v210, 0xffff, v210, v202
	s_delay_alu instid0(VALU_DEP_1) | instskip(SKIP_1) | instid1(VALU_DEP_1)
	v_pk_add_f16 v244, v210, v204
	v_mul_f16_e64 v210, 0x35c8, v159
	v_fma_f16 v204, 0x3b76, v19, v210
	s_delay_alu instid0(VALU_DEP_1) | instskip(SKIP_1) | instid1(VALU_DEP_1)
	v_add_f16_e64 v245, v204, v218
	v_mul_f16_e64 v204, 0xb1e1, v237
	v_fma_f16 v218, v18, 0xbbdd, -v204
	v_fmac_f16_e64 v204, 0xbbdd, v18
	s_delay_alu instid0(VALU_DEP_2) | instskip(SKIP_1) | instid1(VALU_DEP_1)
	v_add_f16_e64 v246, v218, v215
	v_mul_f16_e64 v215, 0xba62, v230
	v_fma_f16 v218, v35, 0xb8d2, -v215
	v_fmac_f16_e64 v215, 0xb8d2, v35
	s_delay_alu instid0(VALU_DEP_2) | instskip(SKIP_2) | instid1(VALU_DEP_2)
	v_add_f16_e64 v224, v218, v217
	v_fma_f16 v217, 0x3722, v31, v219
	v_mul_f16_e64 v218, 0xba62, v200
	v_add_f16_e64 v217, v17, v217
	s_delay_alu instid0(VALU_DEP_2) | instskip(NEXT) | instid1(VALU_DEP_1)
	v_fma_f16 v225, 0xb8d2, v32, v218
	v_add_f16_e64 v225, v225, v217
	v_fma_f16 v217, v35, 0xbbdd, -v247
	v_fmac_f16_e64 v247, 0xbbdd, v35
	s_delay_alu instid0(VALU_DEP_2) | instskip(SKIP_1) | instid1(VALU_DEP_1)
	v_add_f16_e64 v221, v217, v221
	v_fma_f16 v217, 0x2de8, v31, v248
	v_add_f16_e64 v217, v17, v217
	s_delay_alu instid0(VALU_DEP_1) | instskip(SKIP_1) | instid1(VALU_DEP_1)
	v_add_f16_e64 v228, v227, v217
	v_mul_f16_e64 v217, 0x31e1, v229
	v_fma_f16 v227, v30, 0xbbdd, -v217
	v_fmac_f16_e64 v217, 0xbbdd, v30
	s_delay_alu instid0(VALU_DEP_2) | instskip(SKIP_1) | instid1(VALU_DEP_1)
	v_add_f16_e64 v224, v227, v224
	v_mul_f16_e64 v227, 0x31e1, v199
	v_fma_f16 v231, 0xbbdd, v33, v227
	s_delay_alu instid0(VALU_DEP_1) | instskip(SKIP_2) | instid1(VALU_DEP_2)
	v_add_f16_e64 v225, v231, v225
	v_fma_f16 v231, v30, 0xb461, -v250
	v_fmac_f16_e64 v250, 0xb461, v30
	v_add_f16_e64 v232, v231, v221
	v_fma_f16 v221, 0xb461, v33, v251
	s_delay_alu instid0(VALU_DEP_1) | instskip(SKIP_1) | instid1(VALU_DEP_1)
	v_add_f16_e64 v228, v221, v228
	v_mul_f16_e64 v221, 0x3bb2, v226
	v_fma_f16 v231, v38, 0xb461, -v221
	v_fmac_f16_e64 v221, 0xb461, v38
	s_delay_alu instid0(VALU_DEP_2) | instskip(SKIP_1) | instid1(VALU_DEP_1)
	v_add_f16_e64 v224, v231, v224
	v_mul_f16_e64 v231, 0x3bb2, v194
	v_fma_f16 v233, 0xb461, v36, v231
	s_delay_alu instid0(VALU_DEP_1) | instskip(SKIP_2) | instid1(VALU_DEP_2)
	v_add_f16_e64 v233, v233, v225
	v_fma_f16 v225, v38, 0x3b76, -v252
	v_fmac_f16_e64 v252, 0x3b76, v38
	v_add_f16_e64 v234, v225, v232
	v_fma_f16 v225, 0x3b76, v36, v253
	;; [unrolled: 15-line block ×4, first 2 shown]
	s_delay_alu instid0(VALU_DEP_1) | instskip(SKIP_1) | instid1(VALU_DEP_1)
	v_add_f16_e64 v236, v236, v228
	v_mul_f16_e64 v228, 0xbbf7, v216
	v_fma_f16 v76, v40, 0x2de8, -v228
	v_fmac_f16_e64 v228, 0x2de8, v40
	s_delay_alu instid0(VALU_DEP_2) | instskip(SKIP_1) | instid1(VALU_DEP_1)
	v_add_f16_e64 v76, v76, v235
	v_mul_f16_e64 v235, 0xbbf7, v186
	v_fma_f16 v78, 0x2de8, v41, v235
	s_delay_alu instid0(VALU_DEP_1) | instskip(SKIP_1) | instid1(VALU_DEP_1)
	v_add_f16_e32 v71, v78, v71
	v_mul_f16_e64 v78, 0x3a62, v216
	v_fma_f16 v80, v40, 0xb8d2, -v78
	v_fmac_f16_e32 v78, 0xb8d2, v40
	s_delay_alu instid0(VALU_DEP_2) | instskip(SKIP_1) | instid1(VALU_DEP_1)
	v_add_f16_e64 v80, v80, v233
	v_fma_f16 v233, 0xb8d2, v41, v82
	v_add_f16_e64 v236, v233, v236
	v_mul_f16_e64 v233, 0xb836, v237
	s_delay_alu instid0(VALU_DEP_1) | instskip(SKIP_1) | instid1(VALU_DEP_2)
	v_fma_f16 v83, v18, 0xbacd, -v233
	v_fmac_f16_e64 v233, 0xbacd, v18
	v_add_f16_e32 v76, v83, v76
	v_mul_f16_e64 v83, 0x3964, v237
	s_delay_alu instid0(VALU_DEP_1) | instskip(SKIP_1) | instid1(VALU_DEP_2)
	v_fma_f16 v85, v18, 0x39e9, -v83
	v_fmac_f16_e32 v83, 0x39e9, v18
	v_add_f16_e32 v80, v85, v80
	v_mul_f16_e64 v85, 0x3964, v159
	s_delay_alu instid0(VALU_DEP_1) | instskip(NEXT) | instid1(VALU_DEP_1)
	v_fmamk_f16 v87, v19, 0x39e9, v85
	v_add_f16_e64 v87, v87, v236
	v_mul_f16_e64 v236, 0xbacd, v19
	s_delay_alu instid0(VALU_DEP_2) | instskip(NEXT) | instid1(VALU_DEP_2)
	v_pack_b32_f16 v80, v80, v87
	v_fma_f16 v89, 0xb836, v159, v236
	s_delay_alu instid0(VALU_DEP_1) | instskip(SKIP_3) | instid1(VALU_DEP_4)
	v_add_f16_e32 v71, v89, v71
	v_alignbit_b32 v89, v245, v244, 16
	v_pack_b32_f16 v244, v246, v244
	v_mul_f16_e64 v246, 0x3bb2, v200
	v_pack_b32_f16 v71, v76, v71
	v_mul_f16_e64 v76, 0x3836, v230
	ds_store_2addr_b32 v112, v244, v89 offset0:1 offset1:2
	v_mul_f16_e64 v89, 0xbbb2, v223
	v_mul_f16_e64 v244, 0x3836, v200
	ds_store_2addr_b32 v112, v71, v80 offset0:3 offset1:4
	v_fma_f16 v87, v35, 0xbacd, -v76
	v_mul_f16_e64 v230, 0x3bb2, v230
	v_mul_f16_e64 v223, 0xba62, v223
	v_fma_f16 v245, 0xbacd, v32, v244
	v_fma_f16 v91, 0xb461, v32, v246
	v_add_f16_e64 v87, v87, v240
	v_fma_f16 v240, 0xb461, v31, v89
	v_pk_mul_f16 v71, 0xbacd, v30 op_sel_hi:[0,1]
	v_fmac_f16_e32 v76, 0xbacd, v35
	s_delay_alu instid0(VALU_DEP_3) | instskip(NEXT) | instid1(VALU_DEP_3)
	v_add_f16_e64 v240, v17, v240
	v_pk_fma_f16 v80, 0xb836, v199, v71 op_sel:[0,0,1] op_sel_hi:[0,1,0] neg_lo:[0,1,0] neg_hi:[0,1,0]
	v_pk_fma_f16 v71, 0xb836, v199, v71 op_sel:[0,0,1] op_sel_hi:[0,1,0]
	s_delay_alu instid0(VALU_DEP_3) | instskip(SKIP_2) | instid1(VALU_DEP_2)
	v_add_f16_e64 v240, v245, v240
	v_fma_f16 v245, v35, 0xb461, -v230
	v_fmac_f16_e64 v230, 0xb461, v35
	v_add_f16_e64 v241, v245, v241
	v_fma_f16 v245, 0xb8d2, v31, v223
	s_delay_alu instid0(VALU_DEP_1) | instskip(NEXT) | instid1(VALU_DEP_1)
	v_add_f16_e64 v245, v17, v245
	v_add_f16_e64 v91, v91, v245
	v_mul_f16_e64 v245, 0x3964, v229
	v_mul_f16_e64 v229, 0xb5c8, v229
	s_delay_alu instid0(VALU_DEP_2) | instskip(SKIP_1) | instid1(VALU_DEP_2)
	v_fma_f16 v92, v30, 0x39e9, -v245
	v_fmac_f16_e64 v245, 0x39e9, v30
	v_add_f16_e32 v87, v92, v87
	v_mul_f16_e64 v92, 0x3964, v199
	s_delay_alu instid0(VALU_DEP_1) | instskip(NEXT) | instid1(VALU_DEP_1)
	v_fmamk_f16 v94, v33, 0x39e9, v92
	v_add_f16_e64 v94, v94, v240
	v_fma_f16 v240, v30, 0x3b76, -v229
	v_fmac_f16_e64 v229, 0x3b76, v30
	s_delay_alu instid0(VALU_DEP_2) | instskip(SKIP_2) | instid1(VALU_DEP_2)
	v_add_f16_e64 v240, v240, v241
	v_mul_f16_e64 v241, 0xb5c8, v199
	v_mul_f16_e64 v199, 0xb964, v114
	v_fma_f16 v96, 0x3b76, v33, v241
	s_delay_alu instid0(VALU_DEP_1) | instskip(SKIP_1) | instid1(VALU_DEP_1)
	v_add_f16_e32 v91, v96, v91
	v_mul_f16_e64 v96, 0xbb29, v226
	v_fma_f16 v98, v38, 0x3722, -v96
	v_fmac_f16_e32 v96, 0x3722, v38
	s_delay_alu instid0(VALU_DEP_2) | instskip(SKIP_1) | instid1(VALU_DEP_1)
	v_add_f16_e32 v87, v98, v87
	v_mul_f16_e64 v98, 0xbb29, v194
	v_fmamk_f16 v101, v36, 0x3722, v98
	s_delay_alu instid0(VALU_DEP_1) | instskip(SKIP_1) | instid1(VALU_DEP_1)
	v_add_f16_e32 v94, v101, v94
	v_mul_f16_e64 v101, 0xb836, v226
	v_fma_f16 v226, v38, 0xbacd, -v101
	v_fmac_f16_e32 v101, 0xbacd, v38
	s_delay_alu instid0(VALU_DEP_2) | instskip(SKIP_1) | instid1(VALU_DEP_1)
	v_add_f16_e64 v226, v226, v240
	v_mul_f16_e64 v240, 0xb836, v194
	v_fma_f16 v103, 0xbacd, v36, v240
	s_delay_alu instid0(VALU_DEP_1) | instskip(SKIP_1) | instid1(VALU_DEP_1)
	v_add_f16_e32 v91, v103, v91
	v_mul_f16_e64 v103, 0xb1e1, v222
	v_fma_f16 v105, v34, 0xbbdd, -v103
	v_fmac_f16_e32 v103, 0xbbdd, v34
	s_delay_alu instid0(VALU_DEP_2) | instskip(SKIP_1) | instid1(VALU_DEP_1)
	v_add_f16_e32 v87, v105, v87
	v_mul_f16_e64 v105, 0xb1e1, v192
	v_fmamk_f16 v108, v37, 0xbbdd, v105
	s_delay_alu instid0(VALU_DEP_1) | instskip(SKIP_1) | instid1(VALU_DEP_1)
	v_add_f16_e32 v94, v108, v94
	v_mul_f16_e64 v108, 0x3bf7, v222
	v_fma_f16 v222, v34, 0x2de8, -v108
	v_fmac_f16_e32 v108, 0x2de8, v34
	s_delay_alu instid0(VALU_DEP_2) | instskip(SKIP_1) | instid1(VALU_DEP_1)
	v_add_f16_e64 v222, v222, v226
	v_mul_f16_e64 v226, 0x3bf7, v192
	v_fma_f16 v109, 0x2de8, v37, v226
	s_delay_alu instid0(VALU_DEP_1) | instskip(SKIP_1) | instid1(VALU_DEP_1)
	v_add_f16_e32 v91, v109, v91
	v_mul_f16_e64 v109, 0x3bf7, v220
	v_fma_f16 v47, v158, 0x2de8, -v109
	v_fmac_f16_e64 v109, 0x2de8, v158
	s_delay_alu instid0(VALU_DEP_2) | instskip(SKIP_1) | instid1(VALU_DEP_1)
	v_add_f16_e32 v47, v47, v87
	v_mul_f16_e64 v87, 0x3bf7, v163
	v_fmamk_f16 v43, v39, 0x2de8, v87
	s_delay_alu instid0(VALU_DEP_1) | instskip(SKIP_1) | instid1(VALU_DEP_1)
	v_add_f16_e32 v43, v43, v94
	v_mul_f16_e64 v94, 0xb964, v220
	v_fma_f16 v220, v158, 0x39e9, -v94
	v_fmac_f16_e64 v94, 0x39e9, v158
	s_delay_alu instid0(VALU_DEP_2) | instskip(SKIP_1) | instid1(VALU_DEP_1)
	v_add_f16_e64 v220, v220, v222
	v_mul_f16_e64 v222, 0xb964, v163
	v_fma_f16 v49, 0x39e9, v39, v222
	s_delay_alu instid0(VALU_DEP_1) | instskip(SKIP_1) | instid1(VALU_DEP_1)
	v_add_f16_e32 v49, v49, v91
	v_mul_f16_e64 v91, 0xb5c8, v216
	v_fma_f16 v50, v40, 0x3b76, -v91
	v_fmac_f16_e32 v91, 0x3b76, v40
	s_delay_alu instid0(VALU_DEP_2) | instskip(SKIP_1) | instid1(VALU_DEP_1)
	v_add_f16_e32 v47, v50, v47
	v_mul_f16_e64 v50, 0xb5c8, v186
	v_fmamk_f16 v52, v41, 0x3b76, v50
	v_fma_f16 v50, v41, 0x3b76, -v50
	s_delay_alu instid0(VALU_DEP_2) | instskip(SKIP_1) | instid1(VALU_DEP_1)
	v_add_f16_e32 v43, v52, v43
	v_mul_f16_e64 v52, 0xb1e1, v216
	v_fma_f16 v216, v40, 0xbbdd, -v52
	v_fmac_f16_e32 v52, 0xbbdd, v40
	s_delay_alu instid0(VALU_DEP_2) | instskip(SKIP_1) | instid1(VALU_DEP_1)
	v_add_f16_e64 v216, v216, v220
	v_mul_f16_e64 v220, 0xb1e1, v186
	v_fma_f16 v54, 0xbbdd, v41, v220
	s_delay_alu instid0(VALU_DEP_1) | instskip(SKIP_1) | instid1(VALU_DEP_1)
	v_add_f16_e32 v49, v54, v49
	v_mul_f16_e64 v54, 0xba62, v237
	v_fma_f16 v55, v18, 0xb8d2, -v54
	v_fmac_f16_e32 v54, 0xb8d2, v18
	s_delay_alu instid0(VALU_DEP_2) | instskip(SKIP_1) | instid1(VALU_DEP_1)
	v_add_f16_e32 v47, v55, v47
	v_mul_f16_e64 v55, 0x3b29, v237
	v_fma_f16 v237, v18, 0x3722, -v55
	v_fmac_f16_e32 v55, 0x3722, v18
	s_delay_alu instid0(VALU_DEP_2) | instskip(SKIP_1) | instid1(VALU_DEP_1)
	v_add_f16_e64 v216, v237, v216
	v_mul_f16_e64 v237, 0x3b29, v159
	v_fma_f16 v57, 0x3722, v19, v237
	s_delay_alu instid0(VALU_DEP_1) | instskip(SKIP_1) | instid1(VALU_DEP_2)
	v_add_f16_e32 v49, v57, v49
	v_mul_f16_e64 v57, 0xba62, v159
	v_pack_b32_f16 v49, v216, v49
	s_delay_alu instid0(VALU_DEP_2) | instskip(SKIP_1) | instid1(VALU_DEP_2)
	v_fmamk_f16 v58, v19, 0xb8d2, v57
	v_fma_f16 v57, v19, 0xb8d2, -v57
	v_add_f16_e32 v43, v58, v43
	s_delay_alu instid0(VALU_DEP_1) | instskip(SKIP_1) | instid1(VALU_DEP_1)
	v_pack_b32_f16 v43, v47, v43
	v_pk_mul_f16 v47, 0x3b76, v35 op_sel_hi:[0,1]
	v_pk_fma_f16 v58, 0x35c8, v200, v47 op_sel:[0,0,1] op_sel_hi:[0,1,0] neg_lo:[0,1,0] neg_hi:[0,1,0]
	v_pk_fma_f16 v47, 0x35c8, v200, v47 op_sel:[0,0,1] op_sel_hi:[0,1,0]
	v_mul_f16_e64 v200, 0xba62, v120
	s_delay_alu instid0(VALU_DEP_3) | instskip(NEXT) | instid1(VALU_DEP_3)
	v_pk_add_f16 v58, v58, v242
	v_pk_add_f16 v47, v47, v243
	s_delay_alu instid0(VALU_DEP_2) | instskip(NEXT) | instid1(VALU_DEP_2)
	v_pk_add_f16 v58, v80, v58
	v_pk_add_f16 v47, v71, v47
	v_pk_mul_f16 v71, 0x39e9, v38 op_sel_hi:[0,1]
	s_delay_alu instid0(VALU_DEP_1) | instskip(SKIP_2) | instid1(VALU_DEP_3)
	v_pk_fma_f16 v80, 0x3964, v194, v71 op_sel:[0,0,1] op_sel_hi:[0,1,0] neg_lo:[0,1,0] neg_hi:[0,1,0]
	v_pk_fma_f16 v71, 0x3964, v194, v71 op_sel:[0,0,1] op_sel_hi:[0,1,0]
	v_mul_f16_e64 v194, 0xb836, v117
	v_pk_add_f16 v58, v80, v58
	s_delay_alu instid0(VALU_DEP_3) | instskip(SKIP_1) | instid1(VALU_DEP_1)
	v_pk_add_f16 v47, v71, v47
	v_pk_mul_f16 v71, 0xb8d2, v34 op_sel_hi:[0,1]
	v_pk_fma_f16 v80, 0xba62, v192, v71 op_sel:[0,0,1] op_sel_hi:[0,1,0] neg_lo:[0,1,0] neg_hi:[0,1,0]
	v_pk_fma_f16 v71, 0xba62, v192, v71 op_sel:[0,0,1] op_sel_hi:[0,1,0]
	v_pk_mul_f16 v192, 0xb1e1b5c8, v45
	s_delay_alu instid0(VALU_DEP_3) | instskip(NEXT) | instid1(VALU_DEP_3)
	v_pk_add_f16 v58, v80, v58
	v_pk_add_f16 v47, v71, v47
	v_pk_mul_f16 v71, 0x3722, v158 op_sel_hi:[0,1]
	v_mul_f16_e64 v158, 0xbbf7, v45
	s_delay_alu instid0(VALU_DEP_2) | instskip(SKIP_2) | instid1(VALU_DEP_3)
	v_pk_fma_f16 v80, 0x3b29, v163, v71 op_sel:[0,0,1] op_sel_hi:[0,1,0] neg_lo:[0,1,0] neg_hi:[0,1,0]
	v_pk_fma_f16 v71, 0x3b29, v163, v71 op_sel:[0,0,1] op_sel_hi:[0,1,0]
	v_pk_mul_f16 v163, 0xbbb2b836, v113
	v_pk_add_f16 v58, v80, v58
	s_delay_alu instid0(VALU_DEP_3) | instskip(SKIP_1) | instid1(VALU_DEP_1)
	v_pk_add_f16 v47, v71, v47
	v_pk_mul_f16 v71, 0xb461, v40 op_sel_hi:[0,1]
	v_pk_fma_f16 v80, 0xbbb2, v186, v71 op_sel:[0,0,1] op_sel_hi:[0,1,0] neg_lo:[0,1,0] neg_hi:[0,1,0]
	v_pk_fma_f16 v71, 0xbbb2, v186, v71 op_sel:[0,0,1] op_sel_hi:[0,1,0]
	v_mul_f16_e64 v186, 0xbbf7, v113
	s_delay_alu instid0(VALU_DEP_3) | instskip(NEXT) | instid1(VALU_DEP_3)
	v_pk_add_f16 v58, v80, v58
	v_pk_add_f16 v47, v71, v47
	v_pk_mul_f16 v71, 0x2de8, v18 op_sel_hi:[0,1]
	v_lshrrev_b32_e32 v18, 16, v48
	s_delay_alu instid0(VALU_DEP_2) | instskip(SKIP_1) | instid1(VALU_DEP_2)
	v_pk_fma_f16 v80, 0x3bf7, v159, v71 op_sel:[0,0,1] op_sel_hi:[0,1,0] neg_lo:[0,1,0] neg_hi:[0,1,0]
	v_pk_fma_f16 v71, 0x3bf7, v159, v71 op_sel:[0,0,1] op_sel_hi:[0,1,0]
	v_pk_add_f16 v58, v80, v58
	s_delay_alu instid0(VALU_DEP_2) | instskip(NEXT) | instid1(VALU_DEP_1)
	v_pk_add_f16 v47, v71, v47
	v_alignbit_b32 v71, v58, v47, 16
	v_alignbit_b32 v47, v47, v58, 16
	ds_store_2addr_b32 v112, v43, v49 offset0:5 offset1:6
	ds_store_2addr_b32 v112, v47, v71 offset0:8 offset1:9
	v_fma_f16 v47, v31, 0xb8d2, -v223
	v_fma_f16 v58, v31, 0xbacd, -v184
	;; [unrolled: 1-line block ×4, first 2 shown]
	v_add_f16_e64 v43, v230, v239
	v_add_f16_e32 v47, v17, v47
	v_add_f16_e32 v58, v17, v58
	v_mul_f16_e64 v185, 0x3964, v118
	v_mul_f16_e64 v184, 0xbb29, v115
	v_add_f16_e64 v43, v229, v43
	v_add_f16_e32 v47, v49, v47
	v_add_f16_e32 v58, v71, v58
	v_fma_f16 v71, v33, 0x3b76, -v241
	v_add_f16_e64 v49, v183, v238
	v_add_f16_e32 v43, v101, v43
	v_pk_mul_f16 v183, 0xb8d23722, v59
	s_delay_alu instid0(VALU_DEP_4) | instskip(SKIP_1) | instid1(VALU_DEP_4)
	v_add_f16_e32 v47, v71, v47
	v_fma_f16 v71, v33, 0x2de8, -v181
	v_add_f16_e32 v43, v108, v43
	v_add_f16_e64 v49, v179, v49
	v_mul_f16_e64 v181, 0xba62, v45
	v_pk_mul_f16 v179, 0x2de839e9, v53
	v_add_f16_e32 v58, v71, v58
	v_fma_f16 v71, v36, 0xbacd, -v240
	v_add_f16_e32 v43, v94, v43
	v_add_f16_e64 v49, v174, v49
	v_pk_mul_f16 v174, 0x39e93b76, v48
	s_delay_alu instid0(VALU_DEP_4)
	v_add_f16_e32 v47, v71, v47
	v_fma_f16 v71, v36, 0xb8d2, -v175
	v_add_f16_e32 v43, v52, v43
	v_fma_f16 v52, v41, 0xbbdd, -v220
	v_add_f16_e64 v49, v172, v49
	v_mul_f16_e64 v172, 0x35c8, v117
	v_add_f16_e32 v58, v71, v58
	v_fma_f16 v71, v37, 0x2de8, -v226
	v_add_f16_e32 v43, v55, v43
	v_fma_f16 v55, v19, 0x3722, -v237
	v_add_f16_e64 v49, v169, v49
	v_lshrrev_b32_e32 v169, 16, v61
	v_add_f16_e32 v47, v71, v47
	v_fma_f16 v71, v37, 0x3b76, -v173
	v_mul_f16_e64 v173, 0xb5c8, v114
	v_add_f16_e64 v49, v191, v49
	v_mul_f16_e64 v191, 0x3a62, v113
	v_pk_mul_f16 v175, 0x3722bacd, v51
	v_add_f16_e32 v58, v71, v58
	v_fma_f16 v71, v39, 0x39e9, -v222
	v_add_f16_e64 v49, v209, v49
	s_delay_alu instid0(VALU_DEP_2) | instskip(SKIP_2) | instid1(VALU_DEP_3)
	v_add_f16_e32 v47, v71, v47
	v_fma_f16 v71, v39, 0xbbdd, -v171
	v_mul_f16_e64 v171, 0xbbb2, v45
	v_add_f16_e32 v47, v52, v47
	s_delay_alu instid0(VALU_DEP_3)
	v_add_f16_e32 v58, v71, v58
	v_fma_f16 v52, v41, 0x39e9, -v193
	v_fma_f16 v71, v31, 0xb461, -v89
	v_mul_f16_e64 v193, 0xb1e1, v115
	v_add_f16_e32 v47, v55, v47
	v_fma_f16 v55, v19, 0xb461, -v211
	v_add_f16_e32 v52, v52, v58
	v_fma_f16 v58, v32, 0xbbdd, -v249
	v_add_f16_e32 v71, v17, v71
	v_pack_b32_f16 v43, v43, v47
	v_add_f16_e64 v47, v247, v214
	v_add_f16_e32 v52, v55, v52
	v_fma_f16 v55, v31, 0x2de8, -v248
	s_delay_alu instid0(VALU_DEP_3) | instskip(NEXT) | instid1(VALU_DEP_3)
	v_add_f16_e64 v47, v250, v47
	v_pack_b32_f16 v49, v49, v52
	s_delay_alu instid0(VALU_DEP_3) | instskip(SKIP_3) | instid1(VALU_DEP_4)
	v_add_f16_e32 v55, v17, v55
	v_fma_f16 v52, v32, 0x2de8, -v180
	v_pk_mul_f16 v180, 0xbacdb461, v61
	v_add_f16_e64 v47, v252, v47
	v_add_f16_e32 v55, v58, v55
	v_add_f16_e64 v58, v76, v213
	v_fma_f16 v76, v32, 0xbacd, -v244
	s_delay_alu instid0(VALU_DEP_4) | instskip(SKIP_1) | instid1(VALU_DEP_4)
	v_add_f16_e64 v47, v254, v47
	v_fma_f16 v32, v32, 0xb8d2, -v218
	v_add_f16_e64 v58, v245, v58
	s_delay_alu instid0(VALU_DEP_4) | instskip(SKIP_4) | instid1(VALU_DEP_4)
	v_add_f16_e32 v71, v76, v71
	v_fma_f16 v76, v33, 0xb461, -v251
	v_add_f16_e32 v47, v73, v47
	v_fma_f16 v73, v39, 0xbacd, -v75
	v_add_f16_e32 v58, v96, v58
	v_add_f16_e32 v55, v76, v55
	v_fma_f16 v76, v33, 0x39e9, -v92
	v_add_f16_e32 v47, v78, v47
	s_delay_alu instid0(VALU_DEP_4) | instskip(NEXT) | instid1(VALU_DEP_3)
	v_add_f16_e32 v58, v103, v58
	v_add_f16_e32 v71, v76, v71
	v_fma_f16 v76, v36, 0x3b76, -v253
	s_delay_alu instid0(VALU_DEP_3) | instskip(SKIP_1) | instid1(VALU_DEP_3)
	v_add_f16_e32 v58, v109, v58
	v_add_f16_e32 v47, v83, v47
	;; [unrolled: 1-line block ×3, first 2 shown]
	v_fma_f16 v76, v36, 0x3722, -v98
	s_delay_alu instid0(VALU_DEP_4) | instskip(NEXT) | instid1(VALU_DEP_2)
	v_add_f16_e32 v58, v91, v58
	v_add_f16_e32 v71, v76, v71
	v_fma_f16 v76, v37, 0x3722, -v255
	s_delay_alu instid0(VALU_DEP_3) | instskip(NEXT) | instid1(VALU_DEP_2)
	v_add_f16_e32 v54, v54, v58
	v_add_f16_e32 v55, v76, v55
	v_fma_f16 v76, v37, 0xbbdd, -v105
	s_delay_alu instid0(VALU_DEP_2) | instskip(NEXT) | instid1(VALU_DEP_2)
	v_add_f16_e32 v55, v73, v55
	v_add_f16_e32 v71, v76, v71
	v_fma_f16 v73, v39, 0x2de8, -v87
	s_delay_alu instid0(VALU_DEP_1) | instskip(SKIP_1) | instid1(VALU_DEP_2)
	v_add_f16_e32 v71, v73, v71
	v_fma_f16 v73, v41, 0xb8d2, -v82
	v_add_f16_e32 v50, v50, v71
	s_delay_alu instid0(VALU_DEP_2) | instskip(SKIP_4) | instid1(VALU_DEP_4)
	v_add_f16_e32 v55, v73, v55
	v_fma_f16 v71, v19, 0x39e9, -v85
	v_fma_f16 v19, v19, 0x3b76, -v210
	v_mul_f16_e32 v73, 0xb836, v118
	v_add_f16_e32 v50, v57, v50
	v_add_f16_e32 v55, v71, v55
	s_delay_alu instid0(VALU_DEP_2) | instskip(SKIP_1) | instid1(VALU_DEP_3)
	v_pack_b32_f16 v50, v54, v50
	v_mul_f16_e32 v54, 0x35c8, v116
	v_pack_b32_f16 v47, v47, v55
	ds_store_2addr_b32 v112, v49, v43 offset0:10 offset1:11
	v_fma_f16 v43, v31, 0x39e9, -v182
	v_fma_f16 v31, v31, 0x3722, -v219
	v_pk_add_f16 v49, v178, v167
	v_mul_f16_e64 v182, 0x3bb2, v116
	v_mul_f16_e64 v167, 0x3964, v115
	v_add_f16_e32 v43, v17, v43
	v_add_f16_e32 v31, v17, v31
	v_pk_add_f16 v49, v189, v49
	v_add_f16_e64 v17, v17, v161
	v_mul_f16_e64 v161, 0x3bb2, v114
	v_add_f16_e32 v43, v52, v43
	v_add_f16_e32 v31, v32, v31
	v_fma_f16 v32, v33, 0xb8d2, -v190
	v_fma_f16 v33, v33, 0xbbdd, -v227
	v_add_f16_e64 v52, v215, v166
	v_pk_add_f16 v49, v196, v49
	v_add_f16_e32 v16, v16, v17
	v_add_f16_e32 v32, v32, v43
	;; [unrolled: 1-line block ×3, first 2 shown]
	v_fma_f16 v33, v36, 0xbbdd, -v198
	v_fma_f16 v36, v36, 0xb461, -v231
	v_add_f16_e64 v43, v217, v52
	v_add_f16_e64 v16, v165, v16
	v_mul_f16_e64 v166, 0x3bb2, v118
	v_add_f16_e32 v32, v33, v32
	v_add_f16_e32 v31, v36, v31
	v_fma_f16 v33, v37, 0xbacd, -v203
	v_fma_f16 v36, v37, 0x39e9, -v232
	v_add_f16_e64 v37, v221, v43
	v_pk_add_f16 v43, v201, v49
	v_add_f16_e64 v16, v170, v16
	v_add_f16_e32 v32, v33, v32
	v_add_f16_e32 v31, v36, v31
	v_fma_f16 v33, v39, 0xb461, -v206
	v_fma_f16 v36, v39, 0x3b76, -v234
	v_pk_add_f16 v39, v205, v43
	v_add_f16_e64 v37, v225, v37
	v_add_f16_e64 v16, v177, v16
	v_add_f16_e32 v32, v33, v32
	v_add_f16_e32 v31, v36, v31
	v_fma_f16 v33, v41, 0x2de8, -v235
	v_fma_f16 v36, v41, 0x3722, -v208
	v_pk_mul_f16 v41, 0x35c8b1e1, v159
	v_add_f16_e64 v37, v224, v37
	v_add_f16_e64 v16, v188, v16
	v_pack_b32_f16 v33, v33, v212
	v_add_f16_e32 v32, v36, v32
	v_bfi_b32 v31, 0xffff, v31, v41
	v_mul_f16_e64 v41, 0xb836, v159
	v_add_f16_e64 v36, v228, v37
	v_add_f16_e64 v16, v197, v16
	v_add_f16_e32 v19, v19, v32
	v_pk_add_f16 v31, v33, v31
	v_bfi_b32 v41, 0xffff, v41, v39
	v_pk_add_f16 v39, v207, v39
	v_add_f16_e64 v32, v233, v36
	v_add_f16_e64 v16, v202, v16
	v_mul_f16_e32 v36, 0xbb29, v45
	v_pk_add_f16 v41, v236, v41 neg_lo:[0,1] neg_hi:[0,1]
	v_mul_f16_e64 v170, 0x3836, v116
	v_mul_f16_e32 v49, 0x3b29, v116
	v_mul_f16_e64 v190, 0xb5c8, v118
	v_mul_f16_e64 v188, 0xbb29, v117
	v_bfi_b32 v33, 0xffff, v41, v39
	v_mul_f16_e32 v41, 0xb1e1, v116
	v_mul_f16_e64 v198, 0x3bf7, v115
	v_pk_mul_f16 v159, 0x3b29ba62, v114
	v_mul_f16_e64 v197, 0xb5c8, v113
	v_pk_add_f16 v31, v33, v31
	v_mul_f16_e32 v33, 0xba62, v116
	v_mul_f16_e64 v201, 0xb1e1, v113
	v_lshrrev_b32_e32 v165, 16, v64
	v_mul_f16_e64 v189, 0xb836, v120
	v_alignbit_b32 v19, v19, v31, 16
	v_pack_b32_f16 v31, v32, v31
	ds_store_2addr_b32 v112, v50, v47 offset0:12 offset1:13
	v_add_f16_e64 v32, v162, v160
	v_fma_f16 v34, v18, 0xb8d2, -v33
	v_fmamk_f16 v50, v18, 0x3722, v49
	v_mul_f16_e64 v160, 0x3bb2, v117
	v_lshrrev_b32_e32 v162, 16, v59
	v_add_f16_e64 v30, v164, v32
	v_mul_f16_e64 v164, 0x35c8, v120
	v_mul_f16_e64 v196, 0x3964, v120
	;; [unrolled: 1-line block ×3, first 2 shown]
	v_pk_mul_f16 v178, 0x3bf7b1e1, v120
	v_add_f16_e64 v17, v168, v30
	v_lshrrev_b32_e32 v30, 16, v42
	v_mul_f16_e64 v168, 0x3b29, v113
	v_pk_mul_f16 v177, 0xbbdd2de8, v64
	s_delay_alu instid0(VALU_DEP_4) | instskip(SKIP_1) | instid1(VALU_DEP_2)
	v_add_f16_e64 v17, v176, v17
	v_pk_mul_f16 v176, 0xb461b8d2, v56
	v_add_f16_e64 v17, v187, v17
	v_mul_f16_e64 v187, 0xb836, v114
	s_delay_alu instid0(VALU_DEP_2) | instskip(SKIP_1) | instid1(VALU_DEP_2)
	v_add_f16_e64 v17, v195, v17
	v_mul_f16_e64 v195, 0x3bf7, v114
	v_add_f16_e64 v17, v204, v17
	s_delay_alu instid0(VALU_DEP_1)
	v_pack_b32_f16 v43, v17, v16
	ds_store_2addr_b32 v112, v31, v19 offset0:14 offset1:15
	v_mul_f16_e32 v19, 0xb964, v45
	v_lshrrev_b32_e32 v16, 16, v0
	ds_store_b32 v112, v43 offset:64
	v_mul_f16_e32 v43, 0xbbb2, v111
	v_fma_f16 v17, v30, 0x39e9, -v19
	s_delay_alu instid0(VALU_DEP_1) | instskip(SKIP_1) | instid1(VALU_DEP_1)
	v_add_f16_e32 v31, v17, v16
	v_mul_f16_e32 v17, 0xbbf7, v116
	v_fma_f16 v32, v18, 0x2de8, -v17
	s_delay_alu instid0(VALU_DEP_1) | instskip(SKIP_1) | instid1(VALU_DEP_1)
	v_add_f16_e32 v32, v32, v31
	v_fma_f16 v31, v30, 0x3722, -v36
	v_add_f16_e32 v31, v31, v16
	s_delay_alu instid0(VALU_DEP_1) | instskip(SKIP_2) | instid1(VALU_DEP_2)
	v_add_f16_e32 v37, v34, v31
	v_fma_f16 v31, v30, 0x2de8, -v158
	v_fma_f16 v34, v18, 0xbbdd, -v41
	v_add_f16_e32 v31, v31, v16
	s_delay_alu instid0(VALU_DEP_1) | instskip(SKIP_2) | instid1(VALU_DEP_2)
	v_add_f16_e32 v38, v34, v31
	v_fma_f16 v31, v30, 0xb461, -v171
	;; [unrolled: 5-line block ×3, first 2 shown]
	v_fma_f16 v34, v18, 0xb461, -v182
	v_add_f16_e32 v31, v31, v16
	s_delay_alu instid0(VALU_DEP_1) | instskip(SKIP_3) | instid1(VALU_DEP_3)
	v_add_f16_e32 v40, v34, v31
	v_mul_f16_e32 v31, 0xb836, v46
	v_mul_f16_e64 v34, 0x3b29, v157
	v_mul_f16_e64 v157, 0x31e1, v118
	v_fma_f16 v35, v42, 0xbacd, -v31
	s_delay_alu instid0(VALU_DEP_3) | instskip(SKIP_2) | instid1(VALU_DEP_4)
	v_fma_f16 v46, v48, 0x3722, -v34
	v_fmac_f16_e32 v31, 0xbacd, v42
	v_fmac_f16_e32 v34, 0x3722, v48
	v_add_f16_e32 v35, v35, v0
	s_delay_alu instid0(VALU_DEP_3) | instskip(NEXT) | instid1(VALU_DEP_2)
	v_add_f16_e32 v31, v31, v0
	v_add_f16_e32 v46, v46, v35
	v_mul_f16_e32 v35, 0xb836, v45
	v_mul_f16_e32 v45, 0xb1e1, v45
	s_delay_alu instid0(VALU_DEP_2) | instskip(NEXT) | instid1(VALU_DEP_1)
	v_fmamk_f16 v47, v30, 0xbacd, v35
	v_add_f16_e32 v47, v47, v16
	s_delay_alu instid0(VALU_DEP_1) | instskip(SKIP_3) | instid1(VALU_DEP_2)
	v_add_f16_e32 v47, v50, v47
	v_add_f16_e32 v50, v34, v31
	v_fma_f16 v31, v30, 0xbacd, -v35
	v_fma_f16 v34, v18, 0x3722, -v49
	v_add_f16_e32 v31, v31, v16
	s_delay_alu instid0(VALU_DEP_1) | instskip(SKIP_1) | instid1(VALU_DEP_1)
	v_add_f16_e32 v49, v34, v31
	v_pk_fma_f16 v31, 0x3b76bbdd, v42, v192 op_sel:[0,0,1] op_sel_hi:[1,1,0] neg_lo:[0,0,1] neg_hi:[0,0,1]
	v_pk_add_f16 v34, v31, v0
	v_pk_mul_f16 v31, 0x35c8b964, v116
	s_delay_alu instid0(VALU_DEP_1) | instskip(NEXT) | instid1(VALU_DEP_1)
	v_pk_fma_f16 v35, 0x39e93b76, v48, v31 op_sel:[0,0,1] op_sel_hi:[1,1,0] neg_lo:[0,0,1] neg_hi:[0,0,1]
	v_pk_add_f16 v52, v35, v34
	v_fma_f16 v34, v30, 0xbbdd, -v45
	v_fma_f16 v35, v18, 0x3b76, -v54
	v_fmamk_f16 v45, v30, 0xbbdd, v45
	s_delay_alu instid0(VALU_DEP_3) | instskip(NEXT) | instid1(VALU_DEP_2)
	v_add_f16_e32 v34, v34, v16
	v_pack_b32_f16 v45, v45, v174
	s_delay_alu instid0(VALU_DEP_2) | instskip(SKIP_2) | instid1(VALU_DEP_1)
	v_add_f16_e32 v55, v35, v34
	v_lshrrev_b32_e32 v35, 16, v51
	v_mul_f16_e32 v34, 0xba62, v118
	v_fma_f16 v57, v35, 0xb8d2, -v34
	s_delay_alu instid0(VALU_DEP_1) | instskip(SKIP_1) | instid1(VALU_DEP_1)
	v_add_f16_e32 v57, v57, v32
	v_fma_f16 v32, v35, 0xbbdd, -v157
	v_add_f16_e32 v37, v32, v37
	v_fma_f16 v32, v35, 0xb461, -v166
	s_delay_alu instid0(VALU_DEP_1) | instskip(SKIP_1) | instid1(VALU_DEP_1)
	v_add_f16_e32 v58, v32, v38
	v_fma_f16 v32, v35, 0x39e9, -v185
	v_add_f16_e32 v71, v32, v39
	v_fma_f16 v32, v35, 0x3b76, -v190
	s_delay_alu instid0(VALU_DEP_1) | instskip(SKIP_2) | instid1(VALU_DEP_2)
	v_add_f16_e32 v40, v32, v40
	v_mul_f16_e64 v32, 0xbbf7, v156
	v_lshrrev_b32_e32 v156, 16, v56
	v_fma_f16 v38, v51, 0x2de8, -v32
	v_fmac_f16_e32 v32, 0x2de8, v51
	s_delay_alu instid0(VALU_DEP_2) | instskip(SKIP_1) | instid1(VALU_DEP_3)
	v_add_f16_e32 v46, v38, v46
	v_mul_f16_e32 v38, 0xbbf7, v118
	v_add_f16_e32 v50, v32, v50
	s_delay_alu instid0(VALU_DEP_2) | instskip(SKIP_1) | instid1(VALU_DEP_2)
	v_fma_f16 v32, v35, 0x2de8, -v38
	v_fmamk_f16 v39, v35, 0x2de8, v38
	v_add_f16_e32 v49, v32, v49
	v_pk_mul_f16 v32, 0xb836bb29, v118
	s_delay_alu instid0(VALU_DEP_3) | instskip(SKIP_1) | instid1(VALU_DEP_3)
	v_add_f16_e32 v47, v39, v47
	v_lshrrev_b32_e32 v39, 16, v53
	v_pk_fma_f16 v38, 0x3722bacd, v51, v32 op_sel:[0,0,1] op_sel_hi:[1,1,0] neg_lo:[0,0,1] neg_hi:[0,0,1]
	s_delay_alu instid0(VALU_DEP_1) | instskip(SKIP_1) | instid1(VALU_DEP_1)
	v_pk_add_f16 v52, v38, v52
	v_fma_f16 v38, v35, 0xbacd, -v73
	v_add_f16_e32 v55, v38, v55
	v_mul_f16_e32 v38, 0xb1e1, v117
	s_delay_alu instid0(VALU_DEP_1) | instskip(NEXT) | instid1(VALU_DEP_1)
	v_fma_f16 v75, v39, 0xbbdd, -v38
	v_add_f16_e32 v57, v75, v57
	v_fma_f16 v75, v39, 0xb461, -v160
	s_delay_alu instid0(VALU_DEP_1) | instskip(SKIP_1) | instid1(VALU_DEP_1)
	v_add_f16_e32 v75, v75, v37
	v_fma_f16 v37, v39, 0x3b76, -v172
	v_add_f16_e32 v58, v37, v58
	v_fma_f16 v37, v39, 0x3722, -v188
	s_delay_alu instid0(VALU_DEP_1) | instskip(SKIP_1) | instid1(VALU_DEP_1)
	v_add_f16_e32 v71, v37, v71
	v_fma_f16 v37, v39, 0xbacd, -v194
	v_add_f16_e32 v40, v37, v40
	v_mul_f16_e64 v37, 0x3a62, v155
	v_mul_f16_e64 v155, 0x3836, v115
	s_delay_alu instid0(VALU_DEP_2) | instskip(SKIP_1) | instid1(VALU_DEP_2)
	v_fma_f16 v76, v53, 0xb8d2, -v37
	v_fmac_f16_e32 v37, 0xb8d2, v53
	v_add_f16_e32 v46, v76, v46
	v_mul_f16_e32 v76, 0x3a62, v117
	s_delay_alu instid0(VALU_DEP_3) | instskip(NEXT) | instid1(VALU_DEP_2)
	v_add_f16_e32 v50, v37, v50
	v_fma_f16 v37, v39, 0xb8d2, -v76
	v_fmamk_f16 v78, v39, 0xb8d2, v76
	s_delay_alu instid0(VALU_DEP_2) | instskip(SKIP_1) | instid1(VALU_DEP_3)
	v_add_f16_e32 v49, v37, v49
	v_pk_mul_f16 v37, 0x3964bbf7, v117
	v_add_f16_e32 v47, v78, v47
	s_delay_alu instid0(VALU_DEP_2) | instskip(NEXT) | instid1(VALU_DEP_1)
	v_pk_fma_f16 v76, 0x2de839e9, v53, v37 op_sel:[0,0,1] op_sel_hi:[1,1,0] neg_lo:[0,0,1] neg_hi:[0,0,1]
	v_pk_add_f16 v52, v76, v52
	v_mul_f16_e32 v76, 0x3964, v117
	s_delay_alu instid0(VALU_DEP_1) | instskip(NEXT) | instid1(VALU_DEP_1)
	v_fma_f16 v78, v39, 0x39e9, -v76
	v_add_f16_e32 v55, v78, v55
	v_fma_f16 v78, v156, 0xbacd, -v155
	s_delay_alu instid0(VALU_DEP_1) | instskip(SKIP_1) | instid1(VALU_DEP_1)
	v_add_f16_e32 v57, v78, v57
	v_fma_f16 v78, v156, 0x39e9, -v167
	v_add_f16_e32 v75, v78, v75
	v_fma_f16 v78, v156, 0x3722, -v184
	s_delay_alu instid0(VALU_DEP_1) | instskip(SKIP_1) | instid1(VALU_DEP_1)
	v_add_f16_e32 v58, v78, v58
	;; [unrolled: 5-line block ×3, first 2 shown]
	v_mul_f16_e64 v40, 0xb5c8, v128
	v_fma_f16 v80, v56, 0x3b76, -v40
	v_fmac_f16_e32 v40, 0x3b76, v56
	s_delay_alu instid0(VALU_DEP_2) | instskip(SKIP_1) | instid1(VALU_DEP_3)
	v_add_f16_e32 v46, v80, v46
	v_mul_f16_e32 v80, 0xb5c8, v115
	v_add_f16_e32 v50, v40, v50
	s_delay_alu instid0(VALU_DEP_2) | instskip(SKIP_1) | instid1(VALU_DEP_2)
	v_fma_f16 v40, v156, 0x3b76, -v80
	v_fma_f16 v82, 0x3b76, v156, v80
	v_add_f16_e32 v49, v40, v49
	v_pk_mul_f16 v40, 0xba62bbb2, v115
	s_delay_alu instid0(VALU_DEP_3) | instskip(NEXT) | instid1(VALU_DEP_2)
	v_add_f16_e32 v47, v82, v47
	v_pk_fma_f16 v80, 0xb461b8d2, v56, v40 op_sel:[0,0,1] op_sel_hi:[1,1,0] neg_lo:[0,0,1] neg_hi:[0,0,1]
	s_delay_alu instid0(VALU_DEP_1) | instskip(SKIP_1) | instid1(VALU_DEP_1)
	v_pk_add_f16 v52, v80, v52
	v_mul_f16_e32 v80, 0xba62, v115
	v_fma_f16 v82, v156, 0xb8d2, -v80
	s_delay_alu instid0(VALU_DEP_1) | instskip(SKIP_1) | instid1(VALU_DEP_1)
	v_add_f16_e32 v55, v82, v55
	v_fma_f16 v82, v162, 0xb461, -v161
	v_add_f16_e32 v57, v82, v57
	v_fma_f16 v82, v162, 0x3b76, -v173
	s_delay_alu instid0(VALU_DEP_1) | instskip(SKIP_1) | instid1(VALU_DEP_1)
	v_add_f16_e32 v75, v82, v75
	v_fma_f16 v82, v162, 0xbacd, -v187
	v_add_f16_e32 v58, v82, v58
	;; [unrolled: 5-line block ×3, first 2 shown]
	v_mul_f16_e32 v82, 0xb1e1, v121
	s_delay_alu instid0(VALU_DEP_1) | instskip(SKIP_1) | instid1(VALU_DEP_2)
	v_fma_f16 v83, v59, 0xbbdd, -v82
	v_fmac_f16_e32 v82, 0xbbdd, v59
	v_add_f16_e32 v46, v83, v46
	v_mul_f16_e32 v83, 0xb1e1, v114
	s_delay_alu instid0(VALU_DEP_3) | instskip(NEXT) | instid1(VALU_DEP_2)
	v_add_f16_e32 v50, v82, v50
	v_fma_f16 v82, v162, 0xbbdd, -v83
	v_fma_f16 v85, 0xbbdd, v162, v83
	s_delay_alu instid0(VALU_DEP_2) | instskip(SKIP_1) | instid1(VALU_DEP_3)
	v_add_f16_e32 v49, v82, v49
	v_pk_fma_f16 v82, 0xb8d23722, v59, v159 op_sel:[0,0,1] op_sel_hi:[1,1,0] neg_lo:[0,0,1] neg_hi:[0,0,1]
	v_add_f16_e32 v47, v85, v47
	s_delay_alu instid0(VALU_DEP_2) | instskip(SKIP_1) | instid1(VALU_DEP_1)
	v_pk_add_f16 v52, v82, v52
	v_mul_f16_e32 v82, 0x3b29, v114
	v_fma_f16 v83, v162, 0x3722, -v82
	s_delay_alu instid0(VALU_DEP_1) | instskip(SKIP_1) | instid1(VALU_DEP_1)
	v_add_f16_e32 v55, v83, v55
	v_fma_f16 v83, v169, 0x3722, -v168
	v_add_f16_e32 v57, v83, v57
	v_fma_f16 v83, v169, 0x2de8, -v186
	s_delay_alu instid0(VALU_DEP_1) | instskip(SKIP_1) | instid1(VALU_DEP_1)
	v_add_f16_e32 v75, v83, v75
	v_fma_f16 v83, v169, 0xb8d2, -v191
	v_add_f16_e32 v58, v83, v58
	;; [unrolled: 5-line block ×3, first 2 shown]
	v_mul_f16_e32 v83, 0x3964, v119
	s_delay_alu instid0(VALU_DEP_1) | instskip(SKIP_1) | instid1(VALU_DEP_2)
	v_fma_f16 v85, v61, 0x39e9, -v83
	v_fmac_f16_e32 v83, 0x39e9, v61
	v_add_f16_e32 v46, v85, v46
	v_mul_f16_e32 v85, 0x3964, v113
	s_delay_alu instid0(VALU_DEP_3) | instskip(NEXT) | instid1(VALU_DEP_2)
	v_add_f16_e32 v50, v83, v50
	v_fma_f16 v83, v169, 0x39e9, -v85
	v_fma_f16 v87, 0x39e9, v169, v85
	s_delay_alu instid0(VALU_DEP_2) | instskip(SKIP_1) | instid1(VALU_DEP_3)
	v_add_f16_e32 v49, v83, v49
	v_pk_fma_f16 v83, 0xbacdb461, v61, v163 op_sel:[0,0,1] op_sel_hi:[1,1,0] neg_lo:[0,0,1] neg_hi:[0,0,1]
	v_add_f16_e32 v47, v87, v47
	s_delay_alu instid0(VALU_DEP_2) | instskip(SKIP_1) | instid1(VALU_DEP_1)
	v_pk_add_f16 v52, v83, v52
	v_mul_f16_e32 v83, 0xbbb2, v113
	v_fma_f16 v85, v169, 0xb461, -v83
	s_delay_alu instid0(VALU_DEP_1) | instskip(SKIP_1) | instid1(VALU_DEP_1)
	v_add_f16_e32 v55, v85, v55
	v_fma_f16 v85, v165, 0x3b76, -v164
	v_add_f16_e32 v79, v85, v57
	v_pk_fma_f16 v57, 0x3b76bbdd, v42, v192 op_sel:[0,0,1] op_sel_hi:[1,1,0]
	s_delay_alu instid0(VALU_DEP_1) | instskip(SKIP_1) | instid1(VALU_DEP_1)
	v_pack_b32_f16 v54, v54, v57
	v_mul_f16_e32 v57, 0x3b76, v18
	v_perm_b32 v57, v0, v57, 0x5040100
	s_delay_alu instid0(VALU_DEP_1) | instskip(SKIP_1) | instid1(VALU_DEP_1)
	v_pk_add_f16 v54, v54, v57
	v_perm_b32 v57, v31, v0, 0x7060302
	v_pk_add_f16 v45, v45, v57
	v_fma_f16 v57, v165, 0xbacd, -v189
	s_delay_alu instid0(VALU_DEP_2) | instskip(NEXT) | instid1(VALU_DEP_2)
	v_pk_add_f16 v45, v45, v54
	v_add_f16_e32 v81, v57, v75
	v_mul_f16_e32 v57, 0xbacd, v35
	v_pack_b32_f16 v54, v73, v175
	s_delay_alu instid0(VALU_DEP_2) | instskip(NEXT) | instid1(VALU_DEP_1)
	v_bfi_b32 v57, 0xffff, v57, v32
	v_pk_add_f16 v54, v54, v57
	v_fma_f16 v57, v165, 0x39e9, -v196
	s_delay_alu instid0(VALU_DEP_2) | instskip(NEXT) | instid1(VALU_DEP_2)
	v_pk_add_f16 v45, v54, v45
	v_add_f16_e32 v84, v57, v58
	v_mul_f16_e32 v57, 0x39e9, v39
	v_pack_b32_f16 v54, v76, v179
	s_delay_alu instid0(VALU_DEP_2) | instskip(NEXT) | instid1(VALU_DEP_1)
	v_bfi_b32 v57, 0xffff, v57, v37
	v_pk_add_f16 v54, v54, v57
	v_fma_f16 v57, v165, 0xb8d2, -v200
	s_delay_alu instid0(VALU_DEP_2) | instskip(NEXT) | instid1(VALU_DEP_2)
	v_pk_add_f16 v45, v54, v45
	v_add_f16_e32 v86, v57, v71
	v_mul_f16_e64 v57, 0xb8d2, v156
	v_pack_b32_f16 v54, v80, v176
	s_delay_alu instid0(VALU_DEP_2) | instskip(NEXT) | instid1(VALU_DEP_1)
	v_bfi_b32 v57, 0xffff, v57, v40
	v_pk_add_f16 v54, v54, v57
	v_fma_f16 v57, v165, 0x3722, -v202
	s_delay_alu instid0(VALU_DEP_2) | instskip(NEXT) | instid1(VALU_DEP_2)
	v_pk_add_f16 v45, v54, v45
	v_add_f16_e32 v88, v57, v78
	v_mul_f16_e64 v57, 0x3722, v162
	v_pack_b32_f16 v54, v82, v183
	s_delay_alu instid0(VALU_DEP_2) | instskip(NEXT) | instid1(VALU_DEP_1)
	v_bfi_b32 v57, 0xffff, v57, v159
	v_pk_add_f16 v54, v54, v57
	v_mul_f16_e32 v57, 0xbbb2, v120
	s_delay_alu instid0(VALU_DEP_2) | instskip(NEXT) | instid1(VALU_DEP_2)
	v_pk_add_f16 v45, v54, v45
	v_fma_f16 v58, 0xb461, v165, v57
	v_mul_f16_e64 v54, 0xb461, v169
	s_delay_alu instid0(VALU_DEP_2) | instskip(SKIP_1) | instid1(VALU_DEP_3)
	v_add_f16_e32 v118, v58, v47
	v_pack_b32_f16 v47, v83, v180
	v_bfi_b32 v54, 0xffff, v54, v163
	s_delay_alu instid0(VALU_DEP_1) | instskip(SKIP_1) | instid1(VALU_DEP_2)
	v_pk_add_f16 v47, v47, v54
	v_fma_f16 v54, v165, 0xb461, -v57
	v_pk_add_f16 v45, v47, v45
	s_delay_alu instid0(VALU_DEP_2) | instskip(SKIP_2) | instid1(VALU_DEP_2)
	v_add_f16_e32 v90, v54, v49
	v_mul_f16_e32 v47, 0x3bf7, v120
	v_mul_f16_e64 v49, 0x2de8, v165
	v_pack_b32_f16 v54, v47, v177
	s_delay_alu instid0(VALU_DEP_2) | instskip(NEXT) | instid1(VALU_DEP_1)
	v_bfi_b32 v49, 0xffff, v49, v178
	v_pk_add_f16 v49, v54, v49
	v_pk_fma_f16 v54, 0xbbdd2de8, v64, v178 op_sel:[0,0,1] op_sel_hi:[1,1,0] neg_lo:[0,0,1] neg_hi:[0,0,1]
	s_delay_alu instid0(VALU_DEP_2) | instskip(SKIP_1) | instid1(VALU_DEP_3)
	v_pk_add_f16 v121, v49, v45
	v_fma_f16 v45, v165, 0x2de8, -v47
	v_pk_add_f16 v128, v54, v52
	s_delay_alu instid0(VALU_DEP_2) | instskip(SKIP_2) | instid1(VALU_DEP_2)
	v_add_f16_e32 v120, v45, v55
	v_fma_f16 v45, v64, 0xb461, -v43
	v_fmac_f16_e32 v43, 0xb461, v64
	v_add_f16_e32 v46, v45, v46
	s_delay_alu instid0(VALU_DEP_2) | instskip(SKIP_1) | instid1(VALU_DEP_1)
	v_add_f16_e32 v45, v43, v50
	v_add_co_u32 v43, null, v151, 17
	v_mul_u32_u24_e32 v222, 17, v43
	s_and_saveexec_b32 s2, vcc_lo
	s_cbranch_execz .LBB0_7
; %bb.6:
	v_pk_add_f16 v1, v1, v0
	s_delay_alu instid0(VALU_DEP_1) | instskip(SKIP_1) | instid1(VALU_DEP_2)
	v_pk_add_f16 v1, v14, v1
	v_mul_f16_e32 v14, 0x2de8, v18
	v_pk_add_f16 v1, v15, v1
	scratch_load_b32 v15, off, off offset:104 th:TH_LOAD_LU ; 4-byte Folded Reload
	v_add_f16_e32 v14, v17, v14
	scratch_load_b32 v17, off, off offset:100 th:TH_LOAD_LU ; 4-byte Folded Reload
	v_pk_add_f16 v1, v12, v1
	v_mul_f16_e32 v12, 0xb461, v48
	s_delay_alu instid0(VALU_DEP_2) | instskip(NEXT) | instid1(VALU_DEP_2)
	v_pk_add_f16 v1, v13, v1
	v_sub_f16_e32 v12, v12, v100
	v_mul_f16_e64 v13, 0x39e9, v162
	s_delay_alu instid0(VALU_DEP_3) | instskip(NEXT) | instid1(VALU_DEP_2)
	v_pk_add_f16 v1, v10, v1
	v_add_f16_e64 v13, v199, v13
	s_delay_alu instid0(VALU_DEP_2) | instskip(SKIP_1) | instid1(VALU_DEP_2)
	v_pk_add_f16 v1, v11, v1
	v_mul_f16_e64 v11, 0x2de8, v156
	v_pk_add_f16 v1, v8, v1
	v_alignbit_b32 v8, v192, v192, 16
	s_delay_alu instid0(VALU_DEP_3) | instskip(NEXT) | instid1(VALU_DEP_3)
	v_add_f16_e64 v11, v198, v11
	v_pk_add_f16 v1, v9, v1
	v_pk_mul_f16 v9, 0x3b76bbdd, v42
	s_delay_alu instid0(VALU_DEP_2) | instskip(NEXT) | instid1(VALU_DEP_2)
	v_pk_add_f16 v1, v6, v1
	v_bfi_b32 v10, 0xffff, v110, v9
	v_pk_add_f16 v8, v8, v9
	v_mul_f16_e32 v9, 0x3b76, v42
	v_mul_f16_e32 v6, 0x2de8, v42
	v_pk_add_f16 v1, v7, v1
	v_mul_f16_e32 v7, 0x3722, v42
	s_delay_alu instid0(VALU_DEP_4) | instskip(SKIP_1) | instid1(VALU_DEP_4)
	v_pk_add_f16 v9, v9, v10 neg_lo:[0,1] neg_hi:[0,1]
	v_mul_f16_e32 v10, 0x39e9, v42
	v_pk_add_f16 v1, v4, v1
	v_mul_f16_e32 v4, 0xb8d2, v42
	v_sub_f16_e64 v6, v6, v145
	v_sub_f16_e64 v7, v7, v138
	v_sub_f16_e32 v10, v10, v69
	v_pk_add_f16 v1, v5, v1
	v_mul_f16_e32 v5, 0xb461, v42
	v_sub_f16_e64 v4, v4, v154
	v_bfi_b32 v8, 0xffff, v9, v8
	v_add_f16_e32 v6, v6, v0
	v_pk_add_f16 v1, v2, v1
	v_mul_f16_e32 v2, 0xb8d2, v30
	v_sub_f16_e64 v5, v5, v153
	v_add_f16_e32 v4, v4, v0
	v_add_f16_e32 v7, v7, v0
	v_pk_add_f16 v1, v3, v1
	v_add_f16_e64 v2, v181, v2
	v_mul_f16_e32 v3, 0xb461, v18
	v_add_f16_e32 v5, v5, v0
	v_add_f16_e32 v9, v10, v0
	v_pk_add_f16 v0, v8, v0
	v_mul_f16_e32 v8, 0x3b76, v35
	v_add_f16_e64 v3, v182, v3
	v_add_f16_e32 v2, v2, v16
	v_mul_f16_e32 v10, 0xbacd, v39
	v_add_f16_e32 v4, v12, v4
	v_add_f16_e64 v8, v190, v8
	v_mul_f16_e32 v12, 0xbacd, v18
	v_add_f16_e32 v2, v3, v2
	v_add_f16_e64 v10, v194, v10
	v_mul_f16_e32 v3, 0x3b76, v51
	v_pk_add_f16 v1, v20, v1
	v_add_f16_e64 v12, v170, v12
	v_add_f16_e32 v2, v8, v2
	v_mul_f16_e32 v8, 0xb461, v30
	v_sub_f16_e64 v3, v3, v152
	s_delay_alu instid0(VALU_DEP_3) | instskip(NEXT) | instid1(VALU_DEP_3)
	v_add_f16_e32 v2, v10, v2
	v_add_f16_e64 v8, v171, v8
	v_mul_f16_e64 v10, 0xbbdd, v169
	s_delay_alu instid0(VALU_DEP_4)
	v_add_f16_e32 v3, v3, v4
	v_mul_f16_e64 v4, 0x3722, v165
	v_add_f16_e32 v2, v11, v2
	v_mul_f16_e32 v11, 0xbacd, v53
	v_add_f16_e64 v10, v201, v10
	v_add_f16_e32 v8, v8, v16
	v_add_f16_e64 v4, v202, v4
	v_add_f16_e32 v2, v13, v2
	v_sub_f16_e64 v11, v11, v150
	v_mul_f16_e32 v13, 0xb8d2, v18
	v_add_f16_e32 v8, v12, v8
	v_mul_f16_e32 v12, 0xbbdd, v18
	v_add_f16_e32 v2, v10, v2
	v_add_f16_e32 v3, v11, v3
	v_mul_f16_e32 v11, 0x39e9, v35
	v_mul_f16_e32 v10, 0x2de8, v56
	v_add_f16_e32 v12, v41, v12
	v_add_f16_e32 v2, v4, v2
	v_mul_f16_e32 v4, 0x39e9, v59
	v_add_f16_e64 v11, v185, v11
	v_sub_f16_e64 v10, v10, v146
	v_add_f16_e32 v13, v33, v13
	v_mul_f16_e32 v18, 0xb461, v59
	v_sub_f16_e64 v4, v4, v147
	v_add_f16_e32 v8, v11, v8
	v_mul_f16_e32 v11, 0xbacd, v48
	v_add_f16_e32 v3, v10, v3
	v_mul_f16_e32 v10, 0x3722, v39
	v_sub_f16_e32 v18, v18, v65
	s_delay_alu instid0(VALU_DEP_4) | instskip(NEXT) | instid1(VALU_DEP_4)
	v_sub_f16_e64 v11, v11, v143
	v_add_f16_e32 v3, v4, v3
	v_mul_f16_e32 v4, 0xbbdd, v61
	v_add_f16_e64 v10, v188, v10
	s_delay_alu instid0(VALU_DEP_4) | instskip(SKIP_1) | instid1(VALU_DEP_4)
	v_add_f16_e32 v5, v11, v5
	v_mul_f16_e32 v11, 0x39e9, v51
	v_sub_f16_e64 v4, v4, v148
	s_delay_alu instid0(VALU_DEP_4) | instskip(SKIP_1) | instid1(VALU_DEP_4)
	v_add_f16_e32 v8, v10, v8
	v_mul_f16_e64 v10, 0xbbdd, v156
	v_sub_f16_e64 v11, v11, v144
	s_delay_alu instid0(VALU_DEP_4) | instskip(SKIP_1) | instid1(VALU_DEP_4)
	v_add_f16_e32 v3, v4, v3
	v_mul_f16_e32 v4, 0x3722, v64
	v_add_f16_e64 v10, v193, v10
	s_delay_alu instid0(VALU_DEP_4) | instskip(SKIP_1) | instid1(VALU_DEP_4)
	v_add_f16_e32 v5, v11, v5
	v_mul_f16_e32 v11, 0x3722, v53
	v_sub_f16_e64 v4, v4, v149
	s_delay_alu instid0(VALU_DEP_4) | instskip(SKIP_1) | instid1(VALU_DEP_4)
	v_add_f16_e32 v8, v10, v8
	v_mul_f16_e64 v10, 0x2de8, v162
	v_sub_f16_e64 v11, v11, v142
	s_delay_alu instid0(VALU_DEP_4) | instskip(SKIP_1) | instid1(VALU_DEP_4)
	v_add_f16_e32 v3, v4, v3
	v_mul_f16_e32 v4, 0x2de8, v30
	v_add_f16_e64 v10, v195, v10
	s_delay_alu instid0(VALU_DEP_4) | instskip(SKIP_1) | instid1(VALU_DEP_4)
	v_add_f16_e32 v5, v11, v5
	v_mul_f16_e32 v11, 0xbbdd, v56
	v_add_f16_e64 v4, v158, v4
	s_delay_alu instid0(VALU_DEP_4)
	v_add_f16_e32 v8, v10, v8
	v_mul_f16_e64 v10, 0x3b76, v169
	v_pack_b32_f16 v2, v3, v2
	v_sub_f16_e64 v11, v11, v141
	v_add_f16_e32 v4, v4, v16
	v_perm_b32 v3, v118, v46, 0x5040100
	v_add_f16_e64 v10, v197, v10
	s_delay_alu instid0(VALU_DEP_4)
	v_add_f16_e32 v5, v11, v5
	v_mul_f16_e32 v11, 0x2de8, v59
	v_add_f16_e32 v4, v12, v4
	v_mul_f16_e32 v12, 0xb461, v35
	v_add_f16_e32 v8, v10, v8
	v_mul_f16_e64 v10, 0xb8d2, v165
	v_sub_f16_e64 v11, v11, v137
	s_delay_alu instid0(VALU_DEP_4) | instskip(NEXT) | instid1(VALU_DEP_3)
	v_add_f16_e64 v12, v166, v12
	v_add_f16_e64 v10, v200, v10
	s_delay_alu instid0(VALU_DEP_3) | instskip(SKIP_1) | instid1(VALU_DEP_4)
	v_add_f16_e32 v5, v11, v5
	v_mul_f16_e32 v11, 0x3b76, v39
	v_add_f16_e32 v4, v12, v4
	v_mul_f16_e32 v12, 0xbbdd, v48
	;; [unrolled: 2-line block ×3, first 2 shown]
	v_add_f16_e64 v11, v172, v11
	s_delay_alu instid0(VALU_DEP_4) | instskip(NEXT) | instid1(VALU_DEP_3)
	v_sub_f16_e64 v12, v12, v130
	v_sub_f16_e64 v10, v10, v139
	s_delay_alu instid0(VALU_DEP_3) | instskip(SKIP_1) | instid1(VALU_DEP_4)
	v_add_f16_e32 v4, v11, v4
	v_mul_f16_e64 v11, 0x3722, v156
	v_add_f16_e32 v6, v12, v6
	v_mul_f16_e32 v12, 0xb461, v51
	v_add_f16_e32 v5, v10, v5
	v_mul_f16_e32 v10, 0xb8d2, v64
	v_add_f16_e64 v11, v184, v11
	s_delay_alu instid0(VALU_DEP_4) | instskip(NEXT) | instid1(VALU_DEP_3)
	v_sub_f16_e64 v12, v12, v131
	v_sub_f16_e64 v10, v10, v140
	s_delay_alu instid0(VALU_DEP_3) | instskip(SKIP_1) | instid1(VALU_DEP_4)
	v_add_f16_e32 v4, v11, v4
	v_mul_f16_e64 v11, 0xbacd, v162
	v_add_f16_e32 v6, v12, v6
	v_mul_f16_e32 v12, 0x3b76, v53
	v_add_f16_e32 v5, v10, v5
	v_mul_f16_e32 v10, 0x3722, v30
	v_add_f16_e64 v11, v187, v11
	s_delay_alu instid0(VALU_DEP_4) | instskip(NEXT) | instid1(VALU_DEP_4)
	v_sub_f16_e64 v12, v12, v132
	v_pack_b32_f16 v5, v5, v8
	s_delay_alu instid0(VALU_DEP_4) | instskip(NEXT) | instid1(VALU_DEP_4)
	v_add_f16_e32 v10, v36, v10
	v_add_f16_e32 v4, v11, v4
	v_mul_f16_e64 v11, 0xb8d2, v169
	v_add_f16_e32 v6, v12, v6
	v_mul_f16_e32 v12, 0x3722, v56
	v_add_f16_e32 v10, v10, v16
	v_bfi_b32 v8, 0xffff, v25, v128
	v_add_f16_e64 v11, v191, v11
	s_delay_alu instid0(VALU_DEP_4) | instskip(NEXT) | instid1(VALU_DEP_4)
	v_sub_f16_e64 v12, v12, v133
	v_add_f16_e32 v10, v13, v10
	v_mul_f16_e32 v13, 0xbbdd, v35
	s_delay_alu instid0(VALU_DEP_4) | instskip(SKIP_4) | instid1(VALU_DEP_4)
	v_add_f16_e32 v4, v11, v4
	v_mul_f16_e64 v11, 0x39e9, v165
	v_add_f16_e32 v6, v12, v6
	v_mul_f16_e32 v12, 0xbacd, v59
	v_add_f16_e64 v13, v157, v13
	v_add_f16_e64 v11, v196, v11
	s_delay_alu instid0(VALU_DEP_3) | instskip(NEXT) | instid1(VALU_DEP_3)
	v_sub_f16_e64 v12, v12, v134
	v_add_f16_e32 v10, v13, v10
	v_mul_f16_e32 v13, 0xb461, v39
	s_delay_alu instid0(VALU_DEP_4) | instskip(SKIP_4) | instid1(VALU_DEP_4)
	v_add_f16_e32 v4, v11, v4
	v_mul_f16_e32 v11, 0xb8d2, v61
	v_add_f16_e32 v6, v12, v6
	v_mul_f16_e64 v12, 0x39e9, v156
	v_add_f16_e64 v13, v160, v13
	v_sub_f16_e64 v11, v11, v135
	s_delay_alu instid0(VALU_DEP_3) | instskip(NEXT) | instid1(VALU_DEP_3)
	v_add_f16_e64 v12, v167, v12
	v_add_f16_e32 v10, v13, v10
	v_mul_f16_e32 v13, 0xb8d2, v48
	s_delay_alu instid0(VALU_DEP_4) | instskip(SKIP_1) | instid1(VALU_DEP_4)
	v_add_f16_e32 v6, v11, v6
	v_mul_f16_e32 v11, 0x39e9, v64
	v_add_f16_e32 v10, v12, v10
	s_delay_alu instid0(VALU_DEP_4) | instskip(SKIP_1) | instid1(VALU_DEP_4)
	v_sub_f16_e32 v13, v13, v122
	v_mul_f16_e64 v12, 0x3b76, v162
	v_sub_f16_e64 v11, v11, v136
	s_delay_alu instid0(VALU_DEP_3) | instskip(SKIP_1) | instid1(VALU_DEP_3)
	v_add_f16_e32 v7, v13, v7
	v_mul_f16_e32 v13, 0xbbdd, v51
	v_add_f16_e32 v6, v11, v6
	v_mul_f16_e32 v11, 0x39e9, v30
	v_add_f16_e64 v12, v173, v12
	s_delay_alu instid0(VALU_DEP_4) | instskip(NEXT) | instid1(VALU_DEP_4)
	v_sub_f16_e32 v13, v13, v123
	v_pack_b32_f16 v4, v6, v4
	s_delay_alu instid0(VALU_DEP_4) | instskip(NEXT) | instid1(VALU_DEP_4)
	v_add_f16_e32 v11, v19, v11
	v_add_f16_e32 v10, v12, v10
	v_mul_f16_e64 v12, 0x2de8, v169
	v_add_f16_e32 v7, v13, v7
	v_mul_f16_e32 v13, 0xb461, v53
	v_add_f16_e32 v11, v11, v16
	scratch_load_b32 v16, off, off offset:96 th:TH_LOAD_LU ; 4-byte Folded Reload
	v_add_f16_e64 v12, v186, v12
	v_bfi_b32 v19, 0xffff, v72, v183
	v_sub_f16_e32 v13, v13, v125
	v_add_f16_e32 v11, v14, v11
	v_mul_f16_e32 v14, 0xb8d2, v35
	v_add_f16_e32 v10, v12, v10
	v_mul_f16_e64 v12, 0xbacd, v165
	v_add_f16_e32 v7, v13, v7
	v_mul_f16_e32 v13, 0x39e9, v56
	v_add_f16_e32 v14, v34, v14
	v_perm_b32 v6, v79, v24, 0x5040100
	v_add_f16_e64 v12, v189, v12
	s_delay_alu instid0(VALU_DEP_4) | instskip(NEXT) | instid1(VALU_DEP_4)
	v_sub_f16_e32 v13, v13, v126
	v_add_f16_e32 v11, v14, v11
	v_mul_f16_e32 v14, 0x2de8, v48
	s_delay_alu instid0(VALU_DEP_4) | instskip(SKIP_3) | instid1(VALU_DEP_3)
	v_add_f16_e32 v10, v12, v10
	v_mul_f16_e32 v12, 0x3b76, v59
	v_add_f16_e32 v7, v13, v7
	v_mul_f16_e32 v13, 0xbbdd, v39
	v_sub_f16_e32 v12, v12, v127
	s_delay_alu instid0(VALU_DEP_2) | instskip(NEXT) | instid1(VALU_DEP_2)
	v_add_f16_e32 v13, v38, v13
	v_add_f16_e32 v7, v12, v7
	v_mul_f16_e32 v12, 0x2de8, v61
	s_delay_alu instid0(VALU_DEP_3) | instskip(SKIP_1) | instid1(VALU_DEP_3)
	v_add_f16_e32 v11, v13, v11
	v_mul_f16_e64 v13, 0xbacd, v156
	v_sub_f16_e64 v12, v12, v129
	s_delay_alu instid0(VALU_DEP_2) | instskip(NEXT) | instid1(VALU_DEP_2)
	v_add_f16_e64 v13, v155, v13
	v_add_f16_e32 v7, v12, v7
	v_mul_f16_e64 v12, 0xb461, v162
	s_delay_alu instid0(VALU_DEP_3) | instskip(SKIP_1) | instid1(VALU_DEP_3)
	v_add_f16_e32 v11, v13, v11
	v_mul_f16_e32 v13, 0xbbdd, v53
	v_add_f16_e64 v12, v161, v12
	s_delay_alu instid0(VALU_DEP_2) | instskip(NEXT) | instid1(VALU_DEP_2)
	v_sub_f16_e32 v13, v13, v60
	v_add_f16_e32 v11, v12, v11
	v_mul_f16_e64 v12, 0x3722, v169
	s_delay_alu instid0(VALU_DEP_1) | instskip(NEXT) | instid1(VALU_DEP_1)
	v_add_f16_e64 v12, v168, v12
	v_add_f16_e32 v11, v12, v11
	v_mul_f16_e32 v12, 0x39e9, v48
	s_wait_loadcnt 0x2
	v_sub_f16_e32 v14, v14, v15
	scratch_load_b32 v15, off, off offset:112 th:TH_LOAD_LU ; 4-byte Folded Reload
	s_wait_loadcnt 0x2
	v_bfi_b32 v17, 0xffff, v17, v179
	v_add_f16_e32 v9, v14, v9
	v_mul_f16_e32 v14, 0xb8d2, v51
	s_wait_loadcnt 0x1
	v_bfi_b32 v16, 0xffff, v16, v175
	s_wait_loadcnt 0x0
	s_delay_alu instid0(VALU_DEP_2) | instskip(SKIP_1) | instid1(VALU_DEP_2)
	v_sub_f16_e32 v14, v14, v15
	v_mul_f16_e32 v15, 0x3722, v51
	v_add_f16_e32 v9, v14, v9
	v_mul_f16_e32 v14, 0xbacd, v64
	s_delay_alu instid0(VALU_DEP_3) | instskip(SKIP_1) | instid1(VALU_DEP_4)
	v_pk_add_f16 v15, v15, v16 neg_lo:[0,1] neg_hi:[0,1]
	v_alignbit_b32 v16, v32, v32, 16
	v_add_f16_e32 v9, v13, v9
	v_mul_f16_e32 v13, 0xbacd, v56
	v_sub_f16_e32 v14, v14, v124
	s_delay_alu instid0(VALU_DEP_4) | instskip(NEXT) | instid1(VALU_DEP_3)
	v_pk_add_f16 v16, v16, v175
	v_sub_f16_e32 v13, v13, v63
	s_delay_alu instid0(VALU_DEP_3) | instskip(NEXT) | instid1(VALU_DEP_3)
	v_add_f16_e32 v7, v14, v7
	v_bfi_b32 v15, 0xffff, v15, v16
	scratch_load_b32 v16, off, off offset:108 th:TH_LOAD_LU ; 4-byte Folded Reload
	v_add_f16_e32 v9, v13, v9
	scratch_load_b32 v13, off, off offset:92 th:TH_LOAD_LU ; 4-byte Folded Reload
	v_pack_b32_f16 v7, v7, v10
	v_add_f16_e32 v9, v18, v9
	s_wait_loadcnt 0x1
	v_bfi_b32 v16, 0xffff, v16, v176
	s_wait_loadcnt 0x0
	v_bfi_b32 v13, 0xffff, v13, v174
	s_delay_alu instid0(VALU_DEP_1) | instskip(SKIP_1) | instid1(VALU_DEP_1)
	v_pk_add_f16 v12, v12, v13 neg_lo:[0,1] neg_hi:[0,1]
	v_alignbit_b32 v13, v31, v31, 16
	v_pk_add_f16 v13, v13, v174
	s_delay_alu instid0(VALU_DEP_1) | instskip(SKIP_1) | instid1(VALU_DEP_2)
	v_bfi_b32 v12, 0xffff, v12, v13
	v_mul_f16_e32 v13, 0x2de8, v53
	v_pk_add_f16 v0, v12, v0
	s_delay_alu instid0(VALU_DEP_2) | instskip(SKIP_2) | instid1(VALU_DEP_4)
	v_pk_add_f16 v13, v13, v17 neg_lo:[0,1] neg_hi:[0,1]
	v_alignbit_b32 v17, v37, v37, 16
	v_mul_f16_e32 v12, 0xb461, v56
	v_pk_add_f16 v0, v15, v0
	v_alignbit_b32 v15, v159, v159, 16
	s_delay_alu instid0(VALU_DEP_4) | instskip(NEXT) | instid1(VALU_DEP_4)
	v_pk_add_f16 v17, v17, v179
	v_pk_add_f16 v12, v12, v16 neg_lo:[0,1] neg_hi:[0,1]
	v_alignbit_b32 v16, v40, v40, 16
	s_delay_alu instid0(VALU_DEP_4) | instskip(NEXT) | instid1(VALU_DEP_4)
	v_pk_add_f16 v15, v15, v183
	v_bfi_b32 v13, 0xffff, v13, v17
	v_mul_f16_e32 v17, 0xb8d2, v59
	s_delay_alu instid0(VALU_DEP_4) | instskip(NEXT) | instid1(VALU_DEP_3)
	v_pk_add_f16 v16, v16, v176
	v_pk_add_f16 v0, v13, v0
	s_delay_alu instid0(VALU_DEP_3) | instskip(SKIP_1) | instid1(VALU_DEP_4)
	v_pk_add_f16 v17, v17, v19 neg_lo:[0,1] neg_hi:[0,1]
	v_mul_f16_e64 v19, 0x3b76, v165
	v_bfi_b32 v12, 0xffff, v12, v16
	v_mul_f16_e32 v16, 0xbacd, v61
	s_delay_alu instid0(VALU_DEP_4)
	v_bfi_b32 v13, 0xffff, v17, v15
	v_bfi_b32 v15, 0xffff, v62, v180
	v_mul_f16_e32 v17, 0x3b76, v64
	v_add_f16_e64 v19, v164, v19
	v_pk_add_f16 v0, v12, v0
	v_mul_f16_e32 v12, 0x3722, v61
	v_pk_add_f16 v15, v16, v15 neg_lo:[0,1] neg_hi:[0,1]
	v_alignbit_b32 v16, v163, v163, 16
	v_add_f16_e32 v11, v19, v11
	v_pk_add_f16 v0, v13, v0
	v_bfi_b32 v13, 0xffff, v67, v177
	v_sub_f16_e32 v12, v12, v66
	v_pk_add_f16 v16, v16, v180
	s_delay_alu instid0(VALU_DEP_2) | instskip(NEXT) | instid1(VALU_DEP_2)
	v_add_f16_e32 v9, v12, v9
	v_bfi_b32 v15, 0xffff, v15, v16
	v_mul_f16_e32 v16, 0xbbdd, v64
	v_sub_f16_e32 v12, v17, v68
	s_delay_alu instid0(VALU_DEP_3) | instskip(NEXT) | instid1(VALU_DEP_3)
	v_pk_add_f16 v0, v15, v0
	v_pk_add_f16 v13, v16, v13 neg_lo:[0,1] neg_hi:[0,1]
	v_alignbit_b32 v16, v178, v178, 16
	s_delay_alu instid0(VALU_DEP_4) | instskip(SKIP_1) | instid1(VALU_DEP_3)
	v_add_f16_e32 v9, v12, v9
	v_lshl_add_u32 v12, v222, 2, v77
	v_pk_add_f16 v16, v16, v177
	s_delay_alu instid0(VALU_DEP_3) | instskip(NEXT) | instid1(VALU_DEP_2)
	v_pack_b32_f16 v9, v9, v11
	v_bfi_b32 v13, 0xffff, v13, v16
	s_delay_alu instid0(VALU_DEP_1)
	v_pk_add_f16 v0, v13, v0
	ds_store_2addr_b32 v12, v1, v0 offset1:1
	ds_store_2addr_b32 v12, v9, v7 offset0:2 offset1:3
	ds_store_2addr_b32 v12, v4, v5 offset0:4 offset1:5
	;; [unrolled: 1-line block ×3, first 2 shown]
	v_perm_b32 v0, v121, v128, 0x5040100
	v_alignbit_b32 v1, v120, v121, 16
	v_perm_b32 v2, v88, v28, 0x5040100
	v_perm_b32 v3, v90, v45, 0x5040100
	;; [unrolled: 1-line block ×5, first 2 shown]
	ds_store_2addr_b32 v12, v0, v1 offset0:8 offset1:9
	ds_store_2addr_b32 v12, v3, v2 offset0:10 offset1:11
	;; [unrolled: 1-line block ×4, first 2 shown]
	ds_store_b32 v12, v8 offset:64
.LBB0_7:
	s_wait_alu 0xfffe
	s_or_b32 exec_lo, exec_lo, s2
	v_add_nc_u16 v1, v151, 51
	v_lshlrev_b32_e32 v0, 3, v151
	global_wb scope:SCOPE_SE
	s_wait_dscnt 0x0
	s_barrier_signal -1
	s_barrier_wait -1
	v_and_b32_e32 v7, 0xff, v1
	global_inv scope:SCOPE_SE
	global_load_b64 v[30:31], v0, s[0:1]
	v_add_nc_u16 v2, v151, 0x44
	v_add_nc_u16 v3, v151, 0x55
	v_mul_lo_u16 v7, 0xf1, v7
	v_add_nc_u16 v4, v151, 0x66
	v_add_nc_u16 v5, v151, 0x77
	v_and_b32_e32 v8, 0xff, v2
	v_and_b32_e32 v9, 0xff, v3
	v_lshrrev_b16 v7, 12, v7
	v_and_b32_e32 v10, 0xff, v4
	v_and_b32_e32 v11, 0xff, v5
	v_mul_lo_u16 v8, 0xf1, v8
	v_mul_lo_u16 v9, 0xf1, v9
	;; [unrolled: 1-line block ×5, first 2 shown]
	v_lshrrev_b16 v8, 12, v8
	v_lshrrev_b16 v9, 12, v9
	v_sub_nc_u16 v47, v1, v7
	v_lshrrev_b16 v10, 12, v10
	v_lshrrev_b16 v11, 12, v11
	v_mul_lo_u16 v8, v8, 17
	v_mul_lo_u16 v9, v9, 17
	v_lshlrev_b16 v1, 1, v47
	v_mul_lo_u16 v10, v10, 17
	v_mul_lo_u16 v11, v11, 17
	v_sub_nc_u16 v54, v2, v8
	v_sub_nc_u16 v55, v3, v9
	v_and_b32_e32 v1, 0xfe, v1
	v_sub_nc_u16 v56, v4, v10
	v_sub_nc_u16 v57, v5, v11
	v_lshlrev_b16 v2, 1, v54
	v_lshlrev_b16 v3, 1, v55
	v_lshlrev_b32_e32 v1, 2, v1
	v_lshlrev_b16 v4, 1, v56
	v_lshlrev_b16 v5, 1, v57
	v_and_b32_e32 v2, 0xfe, v2
	v_and_b32_e32 v3, 0xfe, v3
	global_load_b64 v[40:41], v1, s[0:1]
	v_add_nc_u16 v0, v151, 34
	v_and_b32_e32 v4, 0xfe, v4
	v_lshlrev_b32_e32 v2, 2, v2
	v_and_b32_e32 v5, 0xfe, v5
	v_add_nc_u32_e32 v68, 0x400, v70
	v_and_b32_e32 v6, 0xff, v0
	v_lshlrev_b32_e32 v1, 2, v4
	v_and_b32_e32 v55, 0xff, v55
	v_and_b32_e32 v56, 0xff, v56
	v_and_b32_e32 v57, 0xff, v57
	v_mul_lo_u16 v6, 0xf1, v6
	v_and_b32_e32 v47, 0xff, v47
	v_lshl_add_u32 v111, v55, 2, v77
	v_lshl_add_u32 v122, v56, 2, v77
	;; [unrolled: 1-line block ×3, first 2 shown]
	v_lshrrev_b16 v6, 12, v6
	v_mad_co_u64_u32 v[48:49], null, v151, 28, s[0:1]
	v_and_b32_e32 v54, 0xff, v54
	v_lshl_add_u32 v125, v47, 2, v77
	s_delay_alu instid0(VALU_DEP_4)
	v_mul_lo_u16 v6, v6, 17
	v_add_nc_u32_e32 v47, 0x400, v122
	v_lshl_add_u32 v164, v74, 2, v44
	v_lshl_add_u32 v126, v54, 2, v77
	v_add_nc_u32_e32 v54, 0x400, v123
	v_sub_nc_u16 v20, v0, v6
	v_add_nc_u32_e32 v44, 0x200, v70
	global_load_b64 v[38:39], v2, s[0:1]
	v_lshlrev_b32_e32 v2, 2, v5
	v_lshlrev_b16 v0, 1, v20
	v_and_b32_e32 v20, 0xff, v20
	s_delay_alu instid0(VALU_DEP_2) | instskip(NEXT) | instid1(VALU_DEP_2)
	v_and_b32_e32 v0, 0xfe, v0
	v_lshl_add_u32 v124, v20, 2, v77
	v_add_nc_u32_e32 v20, 0x200, v111
	s_delay_alu instid0(VALU_DEP_3)
	v_lshlrev_b32_e32 v0, 2, v0
	global_load_b64 v[42:43], v0, s[0:1]
	v_lshlrev_b32_e32 v0, 2, v3
	s_clause 0x2
	global_load_b64 v[36:37], v0, s[0:1]
	global_load_b64 v[34:35], v1, s[0:1]
	;; [unrolled: 1-line block ×3, first 2 shown]
	ds_load_2addr_b32 v[6:7], v70 offset1:17
	ds_load_2addr_b32 v[8:9], v70 offset0:136 offset1:153
	ds_load_2addr_b32 v[4:5], v70 offset0:34 offset1:51
	;; [unrolled: 1-line block ×11, first 2 shown]
	global_wb scope:SCOPE_SE
	s_wait_loadcnt_dscnt 0x0
	s_barrier_signal -1
	s_barrier_wait -1
	global_inv scope:SCOPE_SE
	s_add_nc_u64 s[0:1], s[12:13], 0x660
	v_lshrrev_b32_e32 v58, 16, v6
	v_lshrrev_b32_e32 v59, 16, v8
	;; [unrolled: 1-line block ×26, first 2 shown]
	s_delay_alu instid0(VALU_DEP_2) | instskip(SKIP_1) | instid1(VALU_DEP_3)
	v_mul_f16_e32 v55, v59, v116
	v_mul_f16_e32 v56, v8, v116
	;; [unrolled: 1-line block ×8, first 2 shown]
	v_fma_f16 v8, v8, v30, -v55
	v_fmac_f16_e32 v56, v59, v30
	v_fma_f16 v16, v16, v31, -v57
	v_fmac_f16_e32 v94, v80, v31
	;; [unrolled: 2-line block ×4, first 2 shown]
	v_add_f16_e32 v57, v8, v16
	v_sub_f16_e32 v59, v56, v94
	v_add_f16_e32 v61, v58, v56
	v_add_f16_e32 v56, v56, v94
	;; [unrolled: 1-line block ×3, first 2 shown]
	v_sub_f16_e32 v96, v98, v103
	v_add_f16_e32 v101, v60, v98
	v_add_f16_e32 v98, v98, v103
	;; [unrolled: 1-line block ×3, first 2 shown]
	v_sub_f16_e32 v8, v8, v16
	v_add_f16_e32 v80, v7, v9
	v_fma_f16 v6, -0.5, v57, v6
	v_fmac_f16_e32 v58, -0.5, v56
	v_sub_f16_e32 v9, v9, v17
	v_fmac_f16_e32 v7, -0.5, v82
	v_fmac_f16_e32 v60, -0.5, v98
	v_add_f16_e32 v16, v55, v16
	v_add_f16_e32 v55, v61, v94
	;; [unrolled: 1-line block ×4, first 2 shown]
	v_fmamk_f16 v57, v59, 0x3aee, v6
	v_fmac_f16_e32 v6, 0xbaee, v59
	v_fmamk_f16 v59, v8, 0xbaee, v58
	v_fmac_f16_e32 v58, 0x3aee, v8
	;; [unrolled: 2-line block ×4, first 2 shown]
	v_pack_b32_f16 v9, v16, v55
	v_pack_b32_f16 v16, v17, v56
	;; [unrolled: 1-line block ×4, first 2 shown]
	v_lshrrev_b32_e32 v141, 16, v40
	v_lshrrev_b32_e32 v140, 16, v41
	v_pack_b32_f16 v8, v8, v61
	v_pack_b32_f16 v7, v7, v60
	ds_store_2addr_b32 v70, v9, v17 offset1:17
	ds_store_2addr_b32 v70, v6, v16 offset0:34 offset1:51
	ds_store_2addr_b32 v70, v8, v7 offset0:68 offset1:85
	v_mul_f16_e64 v16, v65, v141
	v_mul_f16_e64 v17, v11, v141
	;; [unrolled: 1-line block ×4, first 2 shown]
	s_delay_alu instid0(VALU_DEP_3) | instskip(SKIP_2) | instid1(VALU_DEP_4)
	v_fmac_f16_e32 v17, v65, v40
	v_lshrrev_b32_e32 v162, 16, v38
	v_lshrrev_b32_e32 v136, 16, v39
	v_fmac_f16_e32 v56, v85, v41
	s_delay_alu instid0(VALU_DEP_3) | instskip(SKIP_1) | instid1(VALU_DEP_4)
	v_mul_f16_e64 v57, v67, v162
	v_mul_f16_e64 v58, v12, v162
	v_mul_f16_e64 v59, v87, v136
	v_mul_f16_e64 v60, v50, v136
	s_delay_alu instid0(VALU_DEP_4) | instskip(NEXT) | instid1(VALU_DEP_4)
	v_fma_f16 v12, v12, v38, -v57
	v_fmac_f16_e32 v58, v67, v38
	s_delay_alu instid0(VALU_DEP_3) | instskip(NEXT) | instid1(VALU_DEP_3)
	v_fmac_f16_e32 v60, v87, v39
	v_add_f16_e32 v65, v2, v12
	v_lshrrev_b32_e32 v161, 16, v42
	v_lshrrev_b32_e32 v142, 16, v43
	;; [unrolled: 1-line block ×8, first 2 shown]
	v_mul_f16_e64 v6, v63, v161
	v_mul_f16_e64 v7, v10, v161
	;; [unrolled: 1-line block ×14, first 2 shown]
	v_mul_f16_e32 v109, v92, v127
	v_mul_f16_e64 v138, v53, v127
	v_fma_f16 v6, v10, v42, -v6
	v_fmac_f16_e32 v7, v63, v42
	v_fma_f16 v8, v18, v43, -v8
	v_fmac_f16_e32 v9, v83, v43
	v_fma_f16 v10, v11, v40, -v16
	v_fma_f16 v11, v19, v41, -v55
	;; [unrolled: 1-line block ×4, first 2 shown]
	v_fmac_f16_e32 v80, v71, v36
	v_fma_f16 v18, v51, v37, -v82
	v_fmac_f16_e32 v94, v89, v37
	v_fma_f16 v14, v14, v34, -v96
	v_fmac_f16_e32 v98, v75, v34
	v_fma_f16 v19, v52, v35, -v101
	v_fmac_f16_e32 v103, v91, v35
	v_fma_f16 v15, v15, v32, -v105
	v_fmac_f16_e32 v108, v78, v32
	v_fma_f16 v50, v53, v33, -v109
	v_fmac_f16_e64 v138, v92, v33
	v_add_f16_e32 v52, v6, v8
	v_sub_f16_e32 v53, v7, v9
	v_add_f16_e32 v55, v62, v7
	v_add_f16_e32 v7, v7, v9
	v_add_f16_e32 v59, v10, v11
	v_sub_f16_e32 v61, v17, v56
	v_add_f16_e32 v63, v64, v17
	v_add_f16_e32 v17, v17, v56
	;; [unrolled: 4-line block ×4, first 2 shown]
	v_add_f16_e32 v89, v14, v19
	v_add_f16_e32 v96, v98, v103
	;; [unrolled: 1-line block ×3, first 2 shown]
	v_sub_f16_e64 v105, v108, v138
	v_add_f16_e32 v109, v76, v108
	v_add_f16_e64 v108, v108, v138
	v_add_f16_e32 v51, v4, v6
	v_sub_f16_e32 v6, v6, v8
	v_add_f16_e32 v57, v5, v10
	v_fma_f16 v4, -0.5, v52, v4
	v_fmac_f16_e32 v62, -0.5, v7
	v_sub_f16_e32 v10, v10, v11
	v_fmac_f16_e32 v5, -0.5, v59
	v_fmac_f16_e32 v64, -0.5, v17
	v_sub_f16_e32 v12, v12, v16
	v_fma_f16 v2, -0.5, v67, v2
	v_fmac_f16_e32 v66, -0.5, v58
	v_add_f16_e32 v78, v3, v13
	v_sub_f16_e32 v13, v13, v18
	v_fmac_f16_e32 v3, -0.5, v82
	v_fmac_f16_e32 v69, -0.5, v80
	v_add_f16_e32 v87, v0, v14
	v_sub_f16_e32 v91, v98, v103
	v_add_f16_e32 v92, v73, v98
	v_sub_f16_e32 v14, v14, v19
	;; [unrolled: 2-line block ×3, first 2 shown]
	v_fma_f16 v0, -0.5, v89, v0
	v_fmac_f16_e32 v73, -0.5, v96
	v_fmac_f16_e32 v1, -0.5, v101
	v_fmac_f16_e32 v76, -0.5, v108
	v_add_f16_e32 v8, v51, v8
	v_add_f16_e32 v9, v55, v9
	;; [unrolled: 1-line block ×6, first 2 shown]
	v_fmamk_f16 v56, v53, 0x3aee, v4
	v_fmac_f16_e32 v4, 0xbaee, v53
	v_fmamk_f16 v53, v6, 0xbaee, v62
	v_fmac_f16_e32 v62, 0x3aee, v6
	v_fmamk_f16 v6, v61, 0x3aee, v5
	v_fmamk_f16 v57, v10, 0xbaee, v64
	v_fmac_f16_e32 v64, 0x3aee, v10
	v_fmamk_f16 v10, v71, 0x3aee, v2
	v_fmamk_f16 v58, v12, 0xbaee, v66
	v_add_f16_e32 v18, v78, v18
	v_add_f16_e32 v51, v85, v94
	v_fmac_f16_e32 v66, 0x3aee, v12
	v_fmamk_f16 v12, v83, 0x3aee, v3
	v_fmamk_f16 v59, v13, 0xbaee, v69
	v_add_f16_e32 v19, v87, v19
	v_add_f16_e32 v52, v92, v103
	;; [unrolled: 1-line block ×3, first 2 shown]
	v_add_f16_e64 v55, v109, v138
	v_fmac_f16_e32 v5, 0xbaee, v61
	v_fmac_f16_e32 v2, 0xbaee, v71
	;; [unrolled: 1-line block ×4, first 2 shown]
	v_fmamk_f16 v13, v91, 0x3aee, v0
	v_fmac_f16_e32 v0, 0xbaee, v91
	v_fmamk_f16 v60, v14, 0xbaee, v73
	v_fmac_f16_e32 v73, 0x3aee, v14
	;; [unrolled: 2-line block ×4, first 2 shown]
	v_pack_b32_f16 v8, v8, v9
	v_pack_b32_f16 v9, v16, v17
	;; [unrolled: 1-line block ×18, first 2 shown]
	ds_store_2addr_b32 v124, v8, v17 offset0:102 offset1:119
	ds_store_2addr_b32 v125, v7, v6 offset0:153 offset1:170
	;; [unrolled: 1-line block ×6, first 2 shown]
	ds_store_b32 v124, v4 offset:544
	ds_store_b32 v125, v5 offset:748
	;; [unrolled: 1-line block ×6, first 2 shown]
	global_wb scope:SCOPE_SE
	s_wait_dscnt 0x0
	s_barrier_signal -1
	s_barrier_wait -1
	global_inv scope:SCOPE_SE
	s_clause 0x5
	global_load_b128 v[8:11], v[48:49], off offset:136
	global_load_b96 v[18:20], v[48:49], off offset:152
	global_load_b128 v[4:7], v[48:49], off offset:612
	global_load_b96 v[15:17], v[48:49], off offset:628
	;; [unrolled: 2-line block ×3, first 2 shown]
	ds_load_2addr_b32 v[48:49], v70 offset1:17
	ds_load_2addr_b32 v[50:51], v70 offset0:34 offset1:51
	ds_load_2addr_b32 v[52:53], v70 offset0:102 offset1:119
	;; [unrolled: 1-line block ×11, first 2 shown]
	v_lshlrev_b32_e32 v47, 2, v151
	v_add_nc_u32_e32 v69, 0x400, v164
	s_wait_dscnt 0xb
	v_lshrrev_b32_e32 v71, 16, v48
	s_wait_dscnt 0xa
	v_lshrrev_b32_e32 v73, 16, v51
	;; [unrolled: 2-line block ×9, first 2 shown]
	v_lshrrev_b32_e32 v89, 16, v53
	s_wait_dscnt 0x2
	v_lshrrev_b32_e32 v91, 16, v66
	v_lshrrev_b32_e32 v92, 16, v57
	s_wait_dscnt 0x1
	v_lshrrev_b32_e32 v94, 16, v165
	;; [unrolled: 3-line block ×3, first 2 shown]
	v_lshrrev_b32_e32 v103, 16, v65
	v_lshrrev_b32_e32 v109, 16, v58
	v_lshrrev_b32_e32 v169, 16, v166
	v_lshrrev_b32_e32 v105, 16, v54
	v_lshrrev_b32_e32 v108, 16, v67
	v_lshrrev_b32_e32 v170, 16, v62
	v_lshrrev_b32_e32 v171, 16, v168
	v_lshrrev_b32_e32 v85, 16, v49
	v_lshrrev_b32_e32 v101, 16, v50
	s_wait_loadcnt 0x5
	v_lshrrev_b32_e32 v158, 16, v8
	v_lshrrev_b32_e32 v154, 16, v9
	v_lshrrev_b32_e32 v153, 16, v10
	v_lshrrev_b32_e32 v152, 16, v11
	s_wait_loadcnt 0x4
	v_lshrrev_b32_e32 v150, 16, v18
	v_lshrrev_b32_e32 v149, 16, v19
	v_lshrrev_b32_e32 v148, 16, v20
	s_wait_loadcnt 0x3
	v_lshrrev_b32_e32 v100, 16, v4
	v_lshrrev_b32_e32 v134, 16, v5
	v_lshrrev_b32_e32 v160, 16, v6
	v_lshrrev_b32_e32 v159, 16, v7
	s_wait_loadcnt 0x2
	v_lshrrev_b32_e32 v117, 16, v15
	v_lshrrev_b32_e32 v115, 16, v16
	v_lshrrev_b32_e32 v114, 16, v17
	;; [unrolled: 9-line block ×3, first 2 shown]
	v_mul_f16_e64 v172, v73, v158
	v_mul_f16_e64 v173, v51, v158
	;; [unrolled: 1-line block ×42, first 2 shown]
	v_fma_f16 v51, v51, v8, -v172
	v_fmac_f16_e64 v173, v73, v8
	v_fma_f16 v52, v52, v9, -v174
	v_fmac_f16_e64 v175, v75, v9
	;; [unrolled: 2-line block ×15, first 2 shown]
	v_fmac_f16_e64 v205, v108, v2
	v_fma_f16 v58, v58, v3, -v206
	v_fma_f16 v76, v166, v12, -v208
	v_fmac_f16_e64 v211, v170, v13
	v_fmac_f16_e64 v213, v171, v14
	;; [unrolled: 1-line block ×3, first 2 shown]
	v_fma_f16 v54, v54, v1, -v202
	v_fma_f16 v67, v67, v2, -v204
	v_fmac_f16_e64 v207, v109, v3
	v_fmac_f16_e64 v209, v169, v12
	v_fma_f16 v62, v62, v13, -v210
	v_fma_f16 v78, v168, v14, -v212
	v_sub_f16_e32 v56, v48, v56
	v_sub_f16_e64 v80, v71, v179
	v_sub_f16_e32 v60, v52, v60
	v_sub_f16_e64 v82, v175, v183
	;; [unrolled: 2-line block ×10, first 2 shown]
	v_sub_f16_e64 v96, v101, v207
	v_sub_f16_e32 v62, v54, v62
	v_sub_f16_e64 v103, v201, v209
	v_sub_f16_e32 v78, v67, v78
	v_fma_f16 v52, v52, 2.0, -v60
	v_fma_f16 v108, v175, 2.0, -v82
	;; [unrolled: 1-line block ×4, first 2 shown]
	v_sub_f16_e32 v82, v56, v82
	v_add_f16_e32 v60, v80, v60
	v_sub_f16_e32 v87, v59, v87
	v_add_f16_e32 v63, v83, v63
	v_fma_f16 v48, v48, 2.0, -v56
	v_fma_f16 v71, v71, 2.0, -v80
	;; [unrolled: 1-line block ×14, first 2 shown]
	v_sub_f16_e32 v98, v58, v98
	v_sub_f16_e32 v105, v76, v105
	;; [unrolled: 1-line block ×3, first 2 shown]
	v_add_f16_e32 v61, v89, v61
	v_sub_f16_e32 v94, v73, v94
	v_add_f16_e32 v75, v92, v75
	v_fma_f16 v50, v50, 2.0, -v58
	v_fma_f16 v101, v101, 2.0, -v96
	;; [unrolled: 1-line block ×6, first 2 shown]
	v_add_f16_e32 v62, v96, v62
	v_add_f16_e32 v78, v103, v78
	v_fma_f16 v56, v56, 2.0, -v82
	v_fma_f16 v80, v80, 2.0, -v60
	;; [unrolled: 1-line block ×4, first 2 shown]
	v_sub_f16_e64 v172, v48, v52
	v_sub_f16_e32 v108, v71, v108
	v_sub_f16_e32 v52, v51, v55
	v_sub_f16_e64 v55, v109, v165
	v_fma_f16 v165, 0x39a8, v87, v82
	v_fma_f16 v173, 0x39a8, v63, v60
	v_sub_f16_e64 v174, v49, v53
	v_sub_f16_e64 v166, v85, v166
	v_sub_f16_e32 v66, v64, v66
	v_sub_f16_e64 v175, v168, v167
	v_fma_f16 v58, v58, 2.0, -v98
	v_fma_f16 v76, v76, 2.0, -v105
	v_fma_f16 v176, 0x39a8, v94, v91
	v_fma_f16 v177, 0x39a8, v75, v61
	v_sub_f16_e32 v54, v50, v54
	v_sub_f16_e64 v178, v101, v169
	v_sub_f16_e32 v67, v65, v67
	v_sub_f16_e64 v171, v170, v171
	v_fma_f16 v57, v57, 2.0, -v91
	v_fma_f16 v89, v89, 2.0, -v61
	;; [unrolled: 1-line block ×6, first 2 shown]
	v_fma_f16 v180, 0xb9a8, v59, v56
	v_fma_f16 v181, 0xb9a8, v83, v80
	v_fmamk_f16 v53, v105, 0x39a8, v98
	v_fma_f16 v179, v48, 2.0, -v172
	v_fma_f16 v71, v71, 2.0, -v108
	v_fma_f16 v48, v51, 2.0, -v52
	v_fma_f16 v109, v109, 2.0, -v55
	v_sub_f16_e64 v55, v172, v55
	v_add_f16_e64 v182, v108, v52
	v_fmac_f16_e64 v165, 0xb9a8, v63
	v_fmac_f16_e64 v173, 0x39a8, v87
	v_fma_f16 v63, v49, 2.0, -v174
	v_fma_f16 v85, v85, 2.0, -v166
	;; [unrolled: 1-line block ×4, first 2 shown]
	v_fmamk_f16 v51, v76, 0xb9a8, v58
	v_fmac_f16_e64 v176, 0xb9a8, v75
	v_fmac_f16_e64 v177, 0x39a8, v94
	v_fma_f16 v75, v50, 2.0, -v54
	v_fma_f16 v94, v101, 2.0, -v178
	;; [unrolled: 1-line block ×4, first 2 shown]
	v_fma_f16 v167, 0x39a8, v78, v62
	v_fmamk_f16 v87, v73, 0xb9a8, v57
	v_fma_f16 v183, 0xb9a8, v92, v89
	v_fma_f16 v169, 0xb9a8, v103, v96
	v_fmac_f16_e64 v180, 0xb9a8, v83
	v_fmac_f16_e64 v181, 0x39a8, v59
	v_sub_f16_e64 v52, v54, v171
	v_add_f16_e64 v168, v178, v67
	v_fmac_f16_e32 v53, 0xb9a8, v78
	v_sub_f16_e64 v67, v179, v48
	v_sub_f16_e32 v78, v71, v109
	v_fma_f16 v59, v172, 2.0, -v55
	v_fma_f16 v83, v108, 2.0, -v182
	;; [unrolled: 1-line block ×4, first 2 shown]
	v_sub_f16_e32 v101, v63, v49
	v_sub_f16_e32 v64, v85, v64
	v_fmac_f16_e32 v51, 0xb9a8, v103
	v_sub_f16_e32 v50, v75, v50
	v_sub_f16_e64 v170, v94, v65
	v_sub_f16_e64 v175, v174, v175
	v_add_f16_e64 v66, v166, v66
	v_fmac_f16_e64 v167, 0x39a8, v105
	v_fmac_f16_e32 v87, 0xb9a8, v92
	v_fmac_f16_e64 v183, 0x39a8, v73
	v_fmac_f16_e64 v169, 0x39a8, v76
	v_fma_f16 v56, v56, 2.0, -v180
	v_fma_f16 v80, v80, 2.0, -v181
	;; [unrolled: 1-line block ×4, first 2 shown]
	v_pack_b32_f16 v54, v55, v182
	v_pack_b32_f16 v55, v165, v173
	v_fma_f16 v98, v179, 2.0, -v67
	v_fma_f16 v71, v71, 2.0, -v78
	v_fma_f16 v63, v63, 2.0, -v101
	v_fma_f16 v85, v85, 2.0, -v64
	v_fma_f16 v165, v58, 2.0, -v51
	v_pack_b32_f16 v58, v59, v83
	v_pack_b32_f16 v59, v82, v60
	v_pack_b32_f16 v60, v67, v78
	v_fma_f16 v75, v75, 2.0, -v50
	v_fma_f16 v94, v94, 2.0, -v170
	;; [unrolled: 1-line block ×11, first 2 shown]
	v_pack_b32_f16 v67, v180, v181
	v_pack_b32_f16 v56, v56, v80
	;; [unrolled: 1-line block ×3, first 2 shown]
	ds_store_2addr_b32 v70, v59, v60 offset0:153 offset1:204
	v_pack_b32_f16 v59, v63, v85
	v_pack_b32_f16 v60, v75, v94
	;; [unrolled: 1-line block ×3, first 2 shown]
	ds_store_b32 v70, v55 offset:1428
	v_pack_b32_f16 v55, v73, v92
	v_pack_b32_f16 v73, v87, v183
	;; [unrolled: 1-line block ×13, first 2 shown]
	ds_store_2addr_b32 v44, v67, v54 offset0:127 offset1:178
	ds_store_2addr_b32 v70, v56, v58 offset0:51 offset1:102
	ds_store_2addr_b32 v70, v71, v59 offset1:17
	ds_store_b32 v70, v60 offset:136
	ds_store_2addr_b32 v164, v57, v63 offset0:68 offset1:85
	ds_store_2addr_b32 v164, v55, v78 offset0:119 offset1:136
	;; [unrolled: 1-line block ×7, first 2 shown]
	global_wb scope:SCOPE_SE
	s_wait_dscnt 0x0
	s_barrier_signal -1
	s_barrier_wait -1
	global_inv scope:SCOPE_SE
	s_clause 0x10
	global_load_b32 v69, v[21:22], off offset:1632
	global_load_b32 v71, v47, s[0:1] offset:96
	global_load_b32 v73, v47, s[0:1] offset:192
	;; [unrolled: 1-line block ×16, first 2 shown]
	ds_load_2addr_b32 v[54:55], v70 offset1:24
	ds_load_2addr_b32 v[56:57], v70 offset0:48 offset1:72
	ds_load_2addr_b32 v[58:59], v70 offset0:96 offset1:120
	;; [unrolled: 1-line block ×7, first 2 shown]
	ds_load_b32 v101, v70 offset:1536
	s_wait_dscnt 0x8
	v_lshrrev_b32_e32 v103, 16, v54
	v_lshrrev_b32_e32 v105, 16, v55
	s_wait_dscnt 0x7
	v_lshrrev_b32_e32 v108, 16, v56
	v_lshrrev_b32_e32 v109, 16, v57
	;; [unrolled: 3-line block ×8, first 2 shown]
	s_wait_dscnt 0x0
	v_lshrrev_b32_e32 v187, 16, v101
	s_wait_loadcnt 0x10
	v_lshrrev_b32_e32 v188, 16, v69
	s_wait_loadcnt 0xf
	;; [unrolled: 2-line block ×17, first 2 shown]
	v_lshrrev_b32_e32 v204, 16, v98
	v_mul_f16_e64 v205, v103, v188
	v_mul_f16_e64 v188, v54, v188
	;; [unrolled: 1-line block ×34, first 2 shown]
	v_fma_f16 v54, v54, v69, -v205
	v_fmac_f16_e64 v188, v103, v69
	v_fma_f16 v55, v55, v71, -v206
	v_fmac_f16_e64 v189, v105, v71
	;; [unrolled: 2-line block ×17, first 2 shown]
	v_pack_b32_f16 v54, v54, v188
	v_pack_b32_f16 v55, v55, v189
	;; [unrolled: 1-line block ×17, first 2 shown]
	ds_store_2addr_b32 v70, v54, v55 offset1:24
	ds_store_2addr_b32 v70, v56, v57 offset0:48 offset1:72
	ds_store_2addr_b32 v70, v58, v59 offset0:96 offset1:120
	;; [unrolled: 1-line block ×7, first 2 shown]
	ds_store_b32 v70, v73 offset:1536
	s_and_saveexec_b32 s2, vcc_lo
	s_cbranch_execz .LBB0_9
; %bb.8:
	s_wait_alu 0xfffe
	v_add_co_u32 v54, s0, s0, v47
	s_wait_alu 0xf1ff
	v_add_co_ci_u32_e64 v55, null, s1, 0, s0
	s_clause 0x10
	global_load_b32 v47, v[54:55], off offset:68
	global_load_b32 v69, v[54:55], off offset:164
	;; [unrolled: 1-line block ×17, first 2 shown]
	ds_load_2addr_b32 v[54:55], v70 offset0:17 offset1:41
	ds_load_2addr_b32 v[56:57], v70 offset0:65 offset1:89
	;; [unrolled: 1-line block ×8, first 2 shown]
	ds_load_b32 v98, v70 offset:1604
	s_wait_dscnt 0x8
	v_lshrrev_b32_e32 v101, 16, v54
	v_lshrrev_b32_e32 v103, 16, v55
	s_wait_dscnt 0x7
	v_lshrrev_b32_e32 v105, 16, v56
	v_lshrrev_b32_e32 v108, 16, v57
	;; [unrolled: 3-line block ×8, first 2 shown]
	s_wait_dscnt 0x0
	v_lshrrev_b32_e32 v186, 16, v98
	s_wait_loadcnt 0x10
	v_lshrrev_b32_e32 v187, 16, v47
	s_wait_loadcnt 0xf
	;; [unrolled: 2-line block ×17, first 2 shown]
	v_lshrrev_b32_e32 v203, 16, v96
	v_mul_f16_e64 v204, v101, v187
	v_mul_f16_e64 v187, v54, v187
	;; [unrolled: 1-line block ×34, first 2 shown]
	v_fma_f16 v54, v54, v47, -v204
	v_fmac_f16_e64 v187, v101, v47
	v_fma_f16 v47, v55, v69, -v205
	v_fmac_f16_e64 v188, v103, v69
	;; [unrolled: 2-line block ×17, first 2 shown]
	v_pack_b32_f16 v54, v54, v187
	v_pack_b32_f16 v47, v47, v188
	;; [unrolled: 1-line block ×17, first 2 shown]
	ds_store_2addr_b32 v70, v54, v47 offset0:17 offset1:41
	ds_store_2addr_b32 v70, v55, v56 offset0:65 offset1:89
	;; [unrolled: 1-line block ×8, first 2 shown]
	ds_store_b32 v70, v71 offset:1604
.LBB0_9:
	s_wait_alu 0xfffe
	s_or_b32 exec_lo, exec_lo, s2
	global_wb scope:SCOPE_SE
	s_wait_dscnt 0x0
	s_barrier_signal -1
	s_barrier_wait -1
	global_inv scope:SCOPE_SE
	ds_load_2addr_b32 v[54:55], v70 offset1:24
	ds_load_2addr_b32 v[66:67], v70 offset0:48 offset1:72
	ds_load_2addr_b32 v[62:63], v70 offset0:96 offset1:120
	;; [unrolled: 1-line block ×7, first 2 shown]
	ds_load_b32 v174, v70 offset:1536
	v_lshrrev_b32_e32 v44, 16, v121
	s_and_saveexec_b32 s0, vcc_lo
	s_cbranch_execz .LBB0_11
; %bb.10:
	v_lshl_add_u32 v24, v151, 2, v77
	ds_load_b32 v165, v70 offset:68
	ds_load_2addr_b32 v[48:49], v24 offset0:41 offset1:65
	ds_load_2addr_b32 v[50:51], v24 offset0:89 offset1:113
	v_add_nc_u32_e32 v25, 0x200, v24
	v_add_nc_u32_e32 v71, 0x400, v24
	ds_load_2addr_b32 v[52:53], v24 offset0:137 offset1:161
	ds_load_2addr_b32 v[46:47], v24 offset0:185 offset1:209
	;; [unrolled: 1-line block ×6, first 2 shown]
	s_wait_dscnt 0x8
	v_lshrrev_b32_e32 v166, 16, v165
	s_wait_dscnt 0x7
	v_lshrrev_b32_e32 v171, 16, v48
	v_lshrrev_b32_e32 v172, 16, v49
	s_wait_dscnt 0x6
	v_lshrrev_b32_e32 v170, 16, v50
	;; [unrolled: 3-line block ×8, first 2 shown]
	v_bfi_b32 v128, 0xffff, v47, v25
.LBB0_11:
	s_wait_alu 0xfffe
	s_or_b32 exec_lo, exec_lo, s0
	s_wait_dscnt 0x8
	v_pk_add_f16 v71, v54, v55
	s_wait_dscnt 0x0
	v_pk_add_f16 v175, v55, v174 neg_lo:[0,1] neg_hi:[0,1]
	v_pk_add_f16 v176, v174, v55
	v_lshrrev_b32_e32 v73, 16, v54
	v_add_nc_u32_e32 v47, 0x44, v164
	v_pk_add_f16 v71, v71, v66
	v_lshrrev_b32_e32 v75, 16, v175
	v_lshrrev_b32_e32 v76, 16, v176
	v_add_nc_u32_e32 v157, 0x88, v164
	global_wb scope:SCOPE_SE
	v_pk_add_f16 v55, v71, v67
	v_mul_f16_e32 v89, 0xbbb2, v75
	v_pk_mul_f16 v71, 0xb5c8, v175 op_sel_hi:[0,1]
	v_mul_f16_e32 v91, 0xb461, v76
	v_mul_f16_e32 v92, 0xba62, v75
	v_pk_add_f16 v78, v55, v62
	v_mul_f16_e32 v94, 0xb8d2, v76
	v_fma_f16 v177, 0xb461, v176, v89
	v_pk_fma_f16 v55, 0x3b76, v176, v71 op_sel:[0,0,1] op_sel_hi:[0,1,0]
	v_pk_fma_f16 v173, 0x3b76, v176, v71 op_sel:[0,0,1] op_sel_hi:[0,1,0] neg_lo:[0,0,1] neg_hi:[0,0,1]
	v_pk_add_f16 v78, v78, v63
	v_mul_f16_e32 v71, 0xb964, v75
	v_mul_f16_e32 v82, 0xbb29, v75
	;; [unrolled: 1-line block ×3, first 2 shown]
	v_fma_f16 v178, 0x3bb2, v175, v91
	v_pk_add_f16 v78, v78, v58
	v_fma_f16 v179, 0xb8d2, v176, v92
	v_fma_f16 v180, 0x3a62, v175, v94
	v_add_f16_e64 v181, v54, v177
	v_mul_f16_e32 v75, 0xb836, v75
	v_pk_add_f16 v78, v78, v59
	v_pk_add_f16 v177, v66, v69 neg_lo:[0,1] neg_hi:[0,1]
	v_add_f16_e64 v182, v73, v178
	v_pk_add_f16 v178, v69, v66
	v_mul_f16_e32 v80, 0x39e9, v76
	v_pk_add_f16 v78, v78, v56
	v_lshrrev_b32_e32 v184, 16, v177
	v_mul_f16_e32 v83, 0x3722, v76
	v_mul_f16_e32 v87, 0x2de8, v76
	v_bfi_b32 v96, 0xffff, v55, v173
	v_pk_add_f16 v78, v78, v57
	v_fma_f16 v98, 0x39e9, v176, v71
	v_mul_f16_e32 v76, 0xbacd, v76
	v_lshrrev_b32_e32 v186, 16, v178
	v_fma_f16 v101, 0x3964, v175, v80
	v_pk_add_f16 v78, v78, v60
	v_fma_f16 v71, v176, 0x39e9, -v71
	v_fmac_f16_e64 v80, 0xb964, v175
	v_fma_f16 v105, 0x3b29, v175, v83
	v_fmac_f16_e64 v83, 0xbb29, v175
	v_pk_add_f16 v78, v78, v61
	v_fma_f16 v109, 0x3bf7, v175, v87
	v_fmac_f16_e64 v87, 0xbbf7, v175
	v_fmac_f16_e64 v91, 0xbbb2, v175
	v_pk_add_f16 v96, v54, v96
	v_pk_add_f16 v78, v78, v64
	v_add_f16_e32 v98, v54, v98
	v_fmac_f16_e64 v94, 0xba62, v175
	v_fma_f16 v183, 0x3836, v175, v76
	v_fmac_f16_e64 v76, 0xb836, v175
	v_pk_add_f16 v78, v78, v65
	v_mul_f16_e64 v189, 0x2de8, v186
	v_fma_f16 v103, 0x3722, v176, v82
	v_add_f16_e32 v101, v73, v101
	v_add_f16_e32 v71, v54, v71
	v_pk_add_f16 v78, v78, v68
	v_add_f16_e32 v80, v73, v80
	v_add_f16_e32 v105, v73, v105
	;; [unrolled: 1-line block ×4, first 2 shown]
	v_pk_add_f16 v78, v78, v69
	v_pk_mul_f16 v69, 0xb964, v177 op_sel_hi:[0,1]
	v_add_f16_e32 v87, v73, v87
	v_add_f16_e32 v91, v73, v91
	;; [unrolled: 1-line block ×3, first 2 shown]
	v_pk_add_f16 v174, v78, v174
	v_fma_f16 v78, v176, 0xb8d2, -v92
	v_add_f16_e64 v92, v54, v179
	v_add_f16_e64 v179, v73, v180
	v_fma_f16 v180, 0xbacd, v176, v75
	v_pk_fma_f16 v66, 0x39e9, v178, v69 op_sel:[0,0,1] op_sel_hi:[0,1,0]
	v_pk_fma_f16 v69, 0x39e9, v178, v69 op_sel:[0,0,1] op_sel_hi:[0,1,0] neg_lo:[0,0,1] neg_hi:[0,0,1]
	v_add_f16_e64 v183, v73, v183
	v_add_f16_e32 v73, v73, v76
	v_add_f16_e64 v185, v54, v180
	v_mul_f16_e64 v180, 0xbbf7, v184
	v_bfi_b32 v187, 0xffff, v66, v69
	v_fma_f16 v82, v176, 0x3722, -v82
	v_fma_f16 v108, 0x2de8, v176, v85
	v_add_f16_e32 v103, v54, v103
	v_fma_f16 v188, 0x2de8, v178, v180
	v_pk_add_f16 v76, v187, v96
	v_mul_f16_e64 v187, 0xba62, v184
	v_fma_f16 v180, v178, 0x2de8, -v180
	v_fma_f16 v85, v176, 0x2de8, -v85
	v_add_f16_e64 v96, v188, v98
	v_fma_f16 v98, 0x3bf7, v177, v189
	v_fmac_f16_e64 v189, 0xbbf7, v177
	v_mul_f16_e64 v188, 0xb8d2, v186
	v_add_f16_e64 v71, v180, v71
	v_add_f16_e32 v82, v54, v82
	v_add_f16_e32 v98, v98, v101
	v_fma_f16 v101, 0xb8d2, v178, v187
	v_add_f16_e64 v80, v189, v80
	v_fma_f16 v180, 0x3a62, v177, v188
	v_mul_f16_e64 v189, 0xb1e1, v184
	v_add_f16_e32 v108, v54, v108
	v_add_f16_e32 v101, v101, v103
	v_fma_f16 v103, v178, 0xb8d2, -v187
	v_fmac_f16_e64 v188, 0xba62, v177
	v_add_f16_e64 v105, v180, v105
	v_fma_f16 v180, 0xbbdd, v178, v189
	v_mul_f16_e64 v187, 0xbbdd, v186
	v_add_f16_e32 v85, v54, v85
	v_add_f16_e32 v82, v103, v82
	v_add_f16_e64 v83, v188, v83
	v_mul_f16_e64 v103, 0x3836, v184
	v_add_f16_e64 v108, v180, v108
	v_fma_f16 v180, 0x31e1, v177, v187
	v_fma_f16 v188, v178, 0xbbdd, -v189
	v_fmac_f16_e64 v187, 0xb1e1, v177
	v_mul_f16_e64 v190, 0xbacd, v186
	v_fma_f16 v89, v176, 0xb461, -v89
	v_fma_f16 v189, 0xbacd, v178, v103
	v_add_f16_e64 v109, v180, v109
	v_add_f16_e64 v85, v188, v85
	;; [unrolled: 1-line block ×3, first 2 shown]
	v_fma_f16 v180, 0xb836, v177, v190
	v_mul_f16_e64 v187, 0x3bb2, v184
	v_mul_f16_e64 v188, 0xb461, v186
	v_add_f16_e32 v89, v54, v89
	v_add_f16_e64 v181, v189, v181
	v_fma_f16 v103, v178, 0xbacd, -v103
	v_add_f16_e64 v182, v180, v182
	v_fma_f16 v180, 0xb461, v178, v187
	v_fma_f16 v189, 0xbbb2, v177, v188
	v_mul_f16_e64 v186, 0x3722, v186
	v_add_f16_e32 v89, v103, v89
	v_fma_f16 v103, v178, 0xb461, -v187
	v_add_f16_e64 v92, v180, v92
	v_add_f16_e64 v187, v189, v179
	v_pk_add_f16 v179, v67, v68 neg_lo:[0,1] neg_hi:[0,1]
	v_fma_f16 v189, 0xbb29, v177, v186
	v_pk_add_f16 v180, v68, v67
	v_add_f16_e32 v78, v54, v78
	v_fma_f16 v75, v176, 0xbacd, -v75
	v_mul_f16_e64 v184, 0x3b29, v184
	v_fmac_f16_e64 v188, 0x3bb2, v177
	v_pk_mul_f16 v68, 0xbb29, v179 op_sel_hi:[0,1]
	v_add_f16_e64 v183, v189, v183
	v_lshrrev_b32_e32 v189, 16, v180
	v_add_f16_e32 v75, v54, v75
	v_fmac_f16_e64 v190, 0x3836, v177
	v_add_f16_e32 v78, v103, v78
	v_fma_f16 v103, 0x3722, v178, v184
	v_add_f16_e64 v94, v188, v94
	v_lshrrev_b32_e32 v188, 16, v179
	v_pk_fma_f16 v67, 0x3722, v180, v68 op_sel:[0,0,1] op_sel_hi:[0,1,0]
	v_pk_fma_f16 v68, 0x3722, v180, v68 op_sel:[0,0,1] op_sel_hi:[0,1,0] neg_lo:[0,0,1] neg_hi:[0,0,1]
	v_fma_f16 v184, v178, 0x3722, -v184
	v_fmac_f16_e64 v186, 0x3b29, v177
	v_mul_f16_e64 v192, 0xb8d2, v189
	v_add_f16_e64 v91, v190, v91
	v_add_f16_e64 v103, v103, v185
	v_mul_f16_e64 v185, 0xba62, v188
	v_bfi_b32 v190, 0xffff, v67, v68
	v_add_f16_e64 v75, v184, v75
	v_add_f16_e64 v73, v186, v73
	v_fma_f16 v184, 0x3a62, v179, v192
	v_mul_f16_e64 v186, 0x31e1, v188
	v_fma_f16 v191, 0xb8d2, v180, v185
	v_pk_add_f16 v76, v190, v76
	v_fma_f16 v185, v180, 0xb8d2, -v185
	v_mul_f16_e64 v190, 0xbbdd, v189
	v_add_f16_e64 v98, v184, v98
	v_fma_f16 v184, 0xbbdd, v180, v186
	v_add_f16_e64 v96, v191, v96
	v_add_f16_e64 v71, v185, v71
	v_fma_f16 v185, 0xb1e1, v179, v190
	v_mul_f16_e64 v191, 0x3bb2, v188
	v_add_f16_e64 v101, v184, v101
	v_fma_f16 v184, v180, 0xbbdd, -v186
	v_fmac_f16_e64 v192, 0xba62, v179
	v_fmac_f16_e64 v190, 0x31e1, v179
	v_add_f16_e64 v105, v185, v105
	v_fma_f16 v185, 0xb461, v180, v191
	v_mul_f16_e64 v186, 0xb461, v189
	v_add_f16_e64 v82, v184, v82
	v_mul_f16_e64 v184, 0x3964, v188
	v_add_f16_e64 v80, v192, v80
	v_add_f16_e64 v83, v190, v83
	;; [unrolled: 1-line block ×3, first 2 shown]
	v_fma_f16 v185, 0xbbb2, v179, v186
	v_fma_f16 v190, v180, 0xb461, -v191
	v_fmac_f16_e64 v186, 0x3bb2, v179
	v_fma_f16 v191, 0x39e9, v180, v184
	v_mul_f16_e64 v192, 0x39e9, v189
	v_add_f16_e64 v109, v185, v109
	v_add_f16_e64 v85, v190, v85
	v_add_f16_e64 v87, v186, v87
	v_add_f16_e64 v185, v191, v181
	v_fma_f16 v181, 0xb964, v179, v192
	v_mul_f16_e64 v186, 0xb5c8, v188
	v_mul_f16_e64 v190, 0x3b76, v189
	v_fma_f16 v184, v180, 0x39e9, -v184
	v_fmac_f16_e64 v192, 0x3964, v179
	v_add_f16_e64 v191, v181, v182
	v_fma_f16 v181, 0x3b76, v180, v186
	v_fma_f16 v182, 0x35c8, v179, v190
	v_add_f16_e64 v89, v184, v89
	v_fma_f16 v184, v180, 0x3b76, -v186
	v_fmac_f16_e64 v190, 0xb5c8, v179
	v_add_f16_e64 v92, v181, v92
	v_add_f16_e64 v186, v182, v187
	v_mul_f16_e64 v187, 0xbbf7, v188
	v_pk_add_f16 v181, v62, v65 neg_lo:[0,1] neg_hi:[0,1]
	v_mul_f16_e64 v188, 0x2de8, v189
	v_add_f16_e64 v78, v184, v78
	v_pk_add_f16 v182, v65, v62
	v_fma_f16 v184, 0x2de8, v180, v187
	v_pk_mul_f16 v65, 0xbbf7, v181 op_sel_hi:[0,1]
	v_fma_f16 v189, 0x3bf7, v179, v188
	v_add_f16_e64 v94, v190, v94
	v_lshrrev_b32_e32 v190, 16, v181
	v_add_f16_e64 v103, v184, v103
	v_pk_fma_f16 v62, 0x2de8, v182, v65 op_sel:[0,0,1] op_sel_hi:[0,1,0]
	v_pk_fma_f16 v65, 0x2de8, v182, v65 op_sel:[0,0,1] op_sel_hi:[0,1,0] neg_lo:[0,0,1] neg_hi:[0,0,1]
	v_lshrrev_b32_e32 v184, 16, v182
	v_add_f16_e64 v91, v192, v91
	v_add_f16_e64 v189, v189, v183
	v_mul_f16_e64 v183, 0xb1e1, v190
	v_fma_f16 v187, v180, 0x2de8, -v187
	v_fmac_f16_e64 v188, 0xbbf7, v179
	v_bfi_b32 v192, 0xffff, v62, v65
	v_mul_f16_e64 v194, 0xbbdd, v184
	v_fma_f16 v193, 0xbbdd, v182, v183
	v_add_f16_e64 v75, v187, v75
	v_add_f16_e64 v73, v188, v73
	v_pk_add_f16 v76, v192, v76
	v_fma_f16 v187, 0x31e1, v181, v194
	v_mul_f16_e64 v188, 0x3bb2, v190
	v_fma_f16 v183, v182, 0xbbdd, -v183
	v_mul_f16_e64 v192, 0xb461, v184
	v_add_f16_e64 v96, v193, v96
	v_add_f16_e64 v98, v187, v98
	v_fma_f16 v187, 0xb461, v182, v188
	v_add_f16_e64 v71, v183, v71
	v_fma_f16 v183, 0xbbb2, v181, v192
	v_mul_f16_e64 v193, 0x35c8, v190
	v_fmac_f16_e64 v194, 0xb1e1, v181
	v_add_f16_e64 v101, v187, v101
	v_fma_f16 v187, v182, 0xb461, -v188
	v_add_f16_e64 v105, v183, v105
	v_fma_f16 v183, 0x3b76, v182, v193
	v_mul_f16_e64 v188, 0x3b76, v184
	v_add_f16_e64 v80, v194, v80
	v_fmac_f16_e64 v192, 0x3bb2, v181
	v_mul_f16_e64 v194, 0x3722, v184
	v_add_f16_e64 v108, v183, v108
	v_fma_f16 v183, 0xb5c8, v181, v188
	v_fmac_f16_e64 v188, 0x35c8, v181
	v_add_f16_e64 v82, v187, v82
	v_add_f16_e64 v83, v192, v83
	v_mul_f16_e64 v187, 0xbb29, v190
	v_fma_f16 v192, v182, 0x3b76, -v193
	v_add_f16_e64 v109, v183, v109
	v_add_f16_e64 v87, v188, v87
	v_fma_f16 v183, 0x3b29, v181, v194
	v_mul_f16_e64 v188, 0xb836, v190
	v_fma_f16 v193, 0x3722, v182, v187
	v_add_f16_e64 v85, v192, v85
	v_mul_f16_e64 v192, 0xbacd, v184
	v_fma_f16 v187, v182, 0x3722, -v187
	v_add_f16_e64 v191, v183, v191
	v_fma_f16 v183, 0xbacd, v182, v188
	v_add_f16_e64 v185, v193, v185
	v_fma_f16 v193, 0x3836, v181, v192
	v_add_f16_e64 v89, v187, v89
	v_fma_f16 v187, v182, 0xbacd, -v188
	v_add_f16_e64 v92, v183, v92
	v_mul_f16_e64 v188, 0x3a62, v190
	v_mul_f16_e64 v190, 0xb8d2, v184
	v_pk_add_f16 v183, v63, v64 neg_lo:[0,1] neg_hi:[0,1]
	v_add_f16_e64 v186, v193, v186
	v_add_f16_e64 v78, v187, v78
	v_fmac_f16_e64 v192, 0xb836, v181
	v_fma_f16 v187, 0xb8d2, v182, v188
	v_fma_f16 v193, 0xba62, v181, v190
	v_pk_add_f16 v184, v64, v63
	v_pk_mul_f16 v64, 0xbbb2, v183 op_sel_hi:[0,1]
	v_fmac_f16_e64 v194, 0xbb29, v181
	v_add_f16_e64 v94, v192, v94
	v_lshrrev_b32_e32 v192, 16, v183
	v_add_f16_e64 v103, v187, v103
	v_add_f16_e64 v187, v193, v189
	v_pk_fma_f16 v63, 0xb461, v184, v64 op_sel:[0,0,1] op_sel_hi:[0,1,0]
	v_pk_fma_f16 v64, 0xb461, v184, v64 op_sel:[0,0,1] op_sel_hi:[0,1,0] neg_lo:[0,0,1] neg_hi:[0,0,1]
	v_lshrrev_b32_e32 v193, 16, v184
	v_add_f16_e64 v91, v194, v91
	v_mul_f16_e64 v189, 0x3836, v192
	v_fma_f16 v188, v182, 0xb8d2, -v188
	v_fmac_f16_e64 v190, 0x3a62, v181
	v_bfi_b32 v194, 0xffff, v63, v64
	v_mul_f16_e64 v196, 0xbacd, v193
	v_fma_f16 v195, 0xbacd, v184, v189
	v_add_f16_e64 v75, v188, v75
	v_add_f16_e64 v73, v190, v73
	v_pk_add_f16 v76, v194, v76
	v_fma_f16 v188, 0xb836, v183, v196
	v_mul_f16_e64 v190, 0x3964, v192
	v_fma_f16 v189, v184, 0xbacd, -v189
	v_mul_f16_e64 v194, 0x39e9, v193
	v_add_f16_e64 v96, v195, v96
	v_add_f16_e64 v98, v188, v98
	v_fma_f16 v188, 0x39e9, v184, v190
	v_add_f16_e64 v71, v189, v71
	v_fma_f16 v189, 0xb964, v183, v194
	v_mul_f16_e64 v195, 0xbb29, v192
	v_fmac_f16_e64 v196, 0x3836, v183
	v_add_f16_e64 v101, v188, v101
	v_fma_f16 v188, v184, 0x39e9, -v190
	v_add_f16_e64 v105, v189, v105
	v_fma_f16 v189, 0x3722, v184, v195
	v_mul_f16_e64 v190, 0x3722, v193
	v_fmac_f16_e64 v194, 0x3964, v183
	v_add_f16_e64 v82, v188, v82
	v_mul_f16_e64 v188, 0xb1e1, v192
	v_add_f16_e64 v108, v189, v108
	v_fma_f16 v189, 0x3b29, v183, v190
	v_fmac_f16_e64 v190, 0xbb29, v183
	v_add_f16_e64 v80, v196, v80
	v_add_f16_e64 v83, v194, v83
	v_fma_f16 v194, v184, 0x3722, -v195
	v_fma_f16 v195, 0xbbdd, v184, v188
	v_mul_f16_e64 v196, 0xbbdd, v193
	v_add_f16_e64 v87, v190, v87
	v_mul_f16_e64 v190, 0x3bf7, v192
	v_fma_f16 v188, v184, 0xbbdd, -v188
	v_add_f16_e64 v109, v189, v109
	v_fma_f16 v189, 0x31e1, v183, v196
	v_add_f16_e64 v85, v194, v85
	v_mul_f16_e64 v194, 0x2de8, v193
	v_add_f16_e64 v89, v188, v89
	v_fma_f16 v188, v184, 0x2de8, -v190
	v_add_f16_e64 v189, v189, v191
	v_fma_f16 v191, 0x2de8, v184, v190
	v_mul_f16_e64 v190, 0xb5c8, v192
	v_add_f16_e64 v185, v195, v185
	v_add_f16_e64 v78, v188, v78
	v_pk_add_f16 v188, v58, v61 neg_lo:[0,1] neg_hi:[0,1]
	v_fma_f16 v195, 0xbbf7, v183, v194
	v_add_f16_e64 v92, v191, v92
	v_mul_f16_e64 v191, 0x3b76, v193
	v_fmac_f16_e64 v194, 0x3bf7, v183
	v_fma_f16 v192, 0x3b76, v184, v190
	v_pk_add_f16 v58, v61, v58
	v_pk_mul_f16 v61, 0xba62, v188 op_sel_hi:[0,1]
	v_fmac_f16_e64 v196, 0xb1e1, v183
	v_add_f16_e64 v186, v195, v186
	v_fma_f16 v193, 0x35c8, v183, v191
	v_add_f16_e64 v94, v194, v94
	v_lshrrev_b32_e32 v194, 16, v188
	v_add_f16_e64 v103, v192, v103
	v_pk_fma_f16 v192, 0xb8d2, v58, v61 op_sel:[0,0,1] op_sel_hi:[0,1,0]
	v_pk_fma_f16 v61, 0xb8d2, v58, v61 op_sel:[0,0,1] op_sel_hi:[0,1,0] neg_lo:[0,0,1] neg_hi:[0,0,1]
	v_lshrrev_b32_e32 v195, 16, v58
	v_add_f16_e64 v91, v196, v91
	v_add_f16_e64 v187, v193, v187
	v_mul_f16_e64 v193, 0x3bb2, v194
	v_fma_f16 v190, v184, 0x3b76, -v190
	v_fmac_f16_e64 v191, 0xb5c8, v183
	v_bfi_b32 v196, 0xffff, v192, v61
	v_mul_f16_e64 v198, 0xb461, v195
	v_fma_f16 v197, 0xb461, v58, v193
	v_add_f16_e64 v75, v190, v75
	v_add_f16_e64 v73, v191, v73
	v_pk_add_f16 v76, v196, v76
	v_fma_f16 v190, 0xbbb2, v188, v198
	v_mul_f16_e64 v191, 0xb5c8, v194
	v_fma_f16 v193, v58, 0xb461, -v193
	v_mul_f16_e64 v196, 0x3b76, v195
	v_add_f16_e64 v96, v197, v96
	v_add_f16_e64 v98, v190, v98
	v_fma_f16 v190, 0x3b76, v58, v191
	v_add_f16_e64 v71, v193, v71
	v_fma_f16 v193, 0x35c8, v188, v196
	v_mul_f16_e64 v197, 0xb836, v194
	v_fmac_f16_e64 v198, 0x3bb2, v188
	v_add_f16_e64 v101, v190, v101
	v_fma_f16 v190, v58, 0x3b76, -v191
	v_add_f16_e64 v105, v193, v105
	v_fma_f16 v191, 0xbacd, v58, v197
	v_mul_f16_e64 v193, 0xbacd, v195
	v_add_f16_e64 v80, v198, v80
	v_fmac_f16_e64 v196, 0xb5c8, v188
	v_add_f16_e64 v82, v190, v82
	v_mul_f16_e64 v190, 0x3bf7, v194
	v_add_f16_e64 v108, v191, v108
	v_fma_f16 v191, 0x3836, v188, v193
	v_fmac_f16_e64 v193, 0xb836, v188
	v_mul_f16_e64 v198, 0x2de8, v195
	v_add_f16_e64 v83, v196, v83
	v_fma_f16 v196, v58, 0xbacd, -v197
	v_fma_f16 v197, 0x2de8, v58, v190
	v_add_f16_e64 v109, v191, v109
	v_add_f16_e64 v87, v193, v87
	v_fma_f16 v191, 0xbbf7, v188, v198
	v_mul_f16_e64 v193, 0xb964, v194
	v_fma_f16 v190, v58, 0x2de8, -v190
	v_add_f16_e64 v85, v196, v85
	v_mul_f16_e64 v196, 0x39e9, v195
	v_add_f16_e64 v189, v191, v189
	v_fma_f16 v191, 0x39e9, v58, v193
	v_add_f16_e64 v89, v190, v89
	v_fma_f16 v190, v58, 0x39e9, -v193
	v_add_f16_e64 v185, v197, v185
	v_fma_f16 v197, 0x3964, v188, v196
	v_add_f16_e64 v92, v191, v92
	v_mul_f16_e64 v191, 0xb1e1, v194
	v_add_f16_e64 v78, v190, v78
	v_pk_add_f16 v190, v59, v60 neg_lo:[0,1] neg_hi:[0,1]
	v_mul_f16_e64 v193, 0xbbdd, v195
	v_fmac_f16_e64 v196, 0xb964, v188
	v_fma_f16 v194, 0xbbdd, v58, v191
	v_pk_add_f16 v59, v60, v59
	v_pk_mul_f16 v60, 0xb836, v190 op_sel_hi:[0,1]
	v_fmac_f16_e64 v198, 0x3bf7, v188
	v_add_f16_e64 v186, v197, v186
	v_fma_f16 v195, 0x31e1, v188, v193
	v_add_f16_e64 v94, v196, v94
	v_lshrrev_b32_e32 v196, 16, v190
	v_add_f16_e64 v103, v194, v103
	v_pk_fma_f16 v194, 0xbacd, v59, v60 op_sel:[0,0,1] op_sel_hi:[0,1,0]
	v_pk_fma_f16 v60, 0xbacd, v59, v60 op_sel:[0,0,1] op_sel_hi:[0,1,0] neg_lo:[0,0,1] neg_hi:[0,0,1]
	v_lshrrev_b32_e32 v197, 16, v59
	v_add_f16_e64 v91, v198, v91
	v_add_f16_e64 v187, v195, v187
	v_mul_f16_e64 v195, 0x3b29, v196
	v_fma_f16 v191, v58, 0xbbdd, -v191
	v_fmac_f16_e64 v193, 0xb1e1, v188
	v_bfi_b32 v198, 0xffff, v194, v60
	v_mul_f16_e64 v200, 0x3722, v197
	v_fma_f16 v199, 0x3722, v59, v195
	v_add_f16_e64 v75, v191, v75
	v_add_f16_e64 v73, v193, v73
	v_pk_add_f16 v76, v198, v76
	v_fma_f16 v191, 0xbb29, v190, v200
	v_mul_f16_e64 v193, 0xbbf7, v196
	v_fma_f16 v195, v59, 0x3722, -v195
	v_mul_f16_e64 v198, 0x2de8, v197
	v_add_f16_e64 v96, v199, v96
	v_add_f16_e64 v98, v191, v98
	v_fma_f16 v191, 0x2de8, v59, v193
	v_add_f16_e64 v71, v195, v71
	v_fma_f16 v195, 0x3bf7, v190, v198
	v_mul_f16_e64 v199, 0x3a62, v196
	v_fmac_f16_e64 v200, 0x3b29, v190
	v_add_f16_e64 v101, v191, v101
	v_fma_f16 v191, v59, 0x2de8, -v193
	v_add_f16_e64 v105, v195, v105
	v_fma_f16 v193, 0xb8d2, v59, v199
	v_mul_f16_e64 v195, 0xb8d2, v197
	v_add_f16_e64 v80, v200, v80
	v_mul_f16_e64 v200, 0x3b76, v197
	v_fmac_f16_e64 v198, 0xbbf7, v190
	v_add_f16_e64 v108, v193, v108
	v_fma_f16 v193, 0xba62, v190, v195
	v_fmac_f16_e64 v195, 0x3a62, v190
	v_add_f16_e64 v82, v191, v82
	v_mul_f16_e64 v191, 0xb5c8, v196
	v_add_f16_e64 v83, v198, v83
	v_add_f16_e64 v109, v193, v109
	;; [unrolled: 1-line block ×3, first 2 shown]
	v_fma_f16 v193, 0x35c8, v190, v200
	v_mul_f16_e64 v195, 0xb1e1, v196
	v_fma_f16 v198, v59, 0xb8d2, -v199
	v_fma_f16 v199, 0x3b76, v59, v191
	v_fma_f16 v191, v59, 0x3b76, -v191
	v_add_f16_e64 v189, v193, v189
	v_fma_f16 v193, 0xbbdd, v59, v195
	v_add_f16_e64 v85, v198, v85
	v_mul_f16_e64 v198, 0xbbdd, v197
	v_add_f16_e64 v89, v191, v89
	v_fma_f16 v191, v59, 0xbbdd, -v195
	v_add_f16_e64 v92, v193, v92
	v_mul_f16_e64 v193, 0x3964, v196
	v_add_f16_e64 v185, v199, v185
	v_fma_f16 v199, 0x31e1, v190, v198
	v_add_f16_e64 v78, v191, v78
	v_pk_add_f16 v191, v56, v57 neg_lo:[0,1] neg_hi:[0,1]
	v_fma_f16 v196, 0x39e9, v59, v193
	v_fmac_f16_e64 v198, 0xb1e1, v190
	v_pk_add_f16 v56, v57, v56
	v_add_f16_e64 v186, v199, v186
	v_mul_f16_e64 v195, 0x39e9, v197
	v_add_f16_e64 v103, v196, v103
	v_lshrrev_b32_e32 v196, 16, v191
	v_add_f16_e64 v94, v198, v94
	v_fma_f16 v193, v59, 0x39e9, -v193
	v_lshrrev_b32_e32 v199, 16, v56
	v_fma_f16 v197, 0xb964, v190, v195
	v_mul_f16_e64 v198, 0x35c8, v196
	v_pk_mul_f16 v57, 0xb1e1, v191 op_sel_hi:[0,1]
	v_add_f16_e64 v75, v193, v75
	v_mul_f16_e64 v201, 0x3b76, v199
	v_fmac_f16_e64 v200, 0xb5c8, v190
	v_fma_f16 v193, 0x3b76, v56, v198
	v_add_f16_e64 v187, v197, v187
	v_pk_fma_f16 v197, 0xbbdd, v56, v57 op_sel:[0,0,1] op_sel_hi:[0,1,0]
	v_pk_fma_f16 v57, 0xbbdd, v56, v57 op_sel:[0,0,1] op_sel_hi:[0,1,0] neg_lo:[0,0,1] neg_hi:[0,0,1]
	v_fmac_f16_e64 v195, 0x3964, v190
	v_add_f16_e64 v96, v193, v96
	v_fma_f16 v193, 0xb5c8, v191, v201
	v_fma_f16 v198, v56, 0x3b76, -v198
	v_mul_f16_e64 v202, 0xbacd, v199
	v_add_f16_e64 v91, v200, v91
	v_bfi_b32 v200, 0xffff, v197, v57
	v_add_f16_e64 v73, v195, v73
	v_mul_f16_e64 v195, 0xb836, v196
	v_add_f16_e64 v98, v193, v98
	v_add_f16_e64 v71, v198, v71
	v_fma_f16 v193, 0x3836, v191, v202
	v_mul_f16_e64 v198, 0x3964, v196
	v_pk_add_f16 v76, v200, v76
	v_fma_f16 v200, 0xbacd, v56, v195
	v_fmac_f16_e64 v201, 0x35c8, v191
	v_add_f16_e64 v105, v193, v105
	v_fma_f16 v193, 0x39e9, v56, v198
	v_fma_f16 v195, v56, 0xbacd, -v195
	v_add_f16_e64 v101, v200, v101
	v_mul_f16_e64 v200, 0x39e9, v199
	v_add_f16_e64 v80, v201, v80
	v_add_f16_e64 v108, v193, v108
	v_fma_f16 v193, v56, 0x39e9, -v198
	v_add_f16_e64 v82, v195, v82
	v_fma_f16 v195, 0xb964, v191, v200
	v_mul_f16_e64 v201, 0xba62, v196
	v_fmac_f16_e64 v200, 0x3964, v191
	v_add_f16_e64 v85, v193, v85
	v_mul_f16_e64 v193, 0x3b29, v196
	v_add_f16_e64 v109, v195, v109
	v_fma_f16 v195, 0xb8d2, v56, v201
	v_add_f16_e64 v87, v200, v87
	v_fma_f16 v200, v56, 0xb8d2, -v201
	v_fma_f16 v201, 0x3722, v56, v193
	v_fma_f16 v193, v56, 0x3722, -v193
	v_mul_f16_e64 v196, 0xbbb2, v196
	v_mul_f16_e64 v198, 0xb8d2, v199
	v_pk_mul_f16 v176, 0xbbdd, v176 op_sel_hi:[0,1]
	v_add_f16_e64 v185, v195, v185
	v_add_f16_e64 v78, v193, v78
	v_fma_f16 v193, 0xb461, v56, v196
	v_fma_f16 v195, 0x3a62, v191, v198
	v_pack_b32_f16 v101, v101, v105
	v_pk_mul_f16 v105, 0x3b76, v178 op_sel_hi:[0,1]
	v_pk_mul_f16 v180, 0xbacd, v180 op_sel_hi:[0,1]
	v_add_f16_e64 v103, v193, v103
	v_pk_fma_f16 v193, 0xb1e1, v175, v176 op_sel:[0,0,1] op_sel_hi:[0,1,0]
	v_add_f16_e64 v189, v195, v189
	v_pk_fma_f16 v175, 0xb1e1, v175, v176 op_sel:[0,0,1] op_sel_hi:[0,1,0] neg_lo:[0,1,0] neg_hi:[0,1,0]
	v_pk_fma_f16 v176, 0x35c8, v177, v105 op_sel:[0,0,1] op_sel_hi:[0,1,0]
	v_pack_b32_f16 v96, v96, v98
	v_alignbit_b32 v178, s0, v193, 16
	v_pack_b32_f16 v98, v185, v189
	v_alignbit_b32 v185, s0, v54, 16
	v_pk_add_f16 v175, v54, v175 op_sel:[1,0] op_sel_hi:[0,1]
	v_alignbit_b32 v189, s0, v176, 16
	v_pk_add_f16 v178, v54, v178
	v_pk_fma_f16 v105, 0x35c8, v177, v105 op_sel:[0,0,1] op_sel_hi:[0,1,0] neg_lo:[0,1,0] neg_hi:[0,1,0]
	v_pk_fma_f16 v177, 0xb836, v179, v180 op_sel:[0,0,1] op_sel_hi:[0,1,0]
	v_pk_mul_f16 v182, 0x39e9, v182 op_sel_hi:[0,1]
	v_pk_add_f16 v185, v185, v193
	v_pk_add_f16 v178, v189, v178
	;; [unrolled: 1-line block ×3, first 2 shown]
	v_alignbit_b32 v175, s0, v177, 16
	v_pk_fma_f16 v179, 0xb836, v179, v180 op_sel:[0,0,1] op_sel_hi:[0,1,0] neg_lo:[0,1,0] neg_hi:[0,1,0]
	v_pk_fma_f16 v180, 0x3964, v181, v182 op_sel:[0,0,1] op_sel_hi:[0,1,0]
	v_pk_mul_f16 v184, 0xb8d2, v184 op_sel_hi:[0,1]
	v_bfi_b32 v55, 0xffff, v173, v55
	v_pk_add_f16 v176, v176, v185
	v_pk_add_f16 v175, v175, v178
	;; [unrolled: 1-line block ×3, first 2 shown]
	v_alignbit_b32 v178, s0, v180, 16
	v_pk_fma_f16 v179, 0x3964, v181, v182 op_sel:[0,0,1] op_sel_hi:[0,1,0] neg_lo:[0,1,0] neg_hi:[0,1,0]
	v_pk_fma_f16 v181, 0xba62, v183, v184 op_sel:[0,0,1] op_sel_hi:[0,1,0]
	v_pk_add_f16 v54, v54, v55
	v_bfi_b32 v55, 0xffff, v69, v66
	v_pack_b32_f16 v108, v108, v109
	v_pk_add_f16 v109, v177, v176
	v_pk_add_f16 v175, v178, v175
	v_alignbit_b32 v176, s0, v181, 16
	v_pk_mul_f16 v58, 0x3722, v58 op_sel_hi:[0,1]
	v_pk_add_f16 v54, v55, v54
	v_bfi_b32 v55, 0xffff, v68, v67
	v_pk_add_f16 v105, v179, v105
	v_pk_fma_f16 v177, 0xba62, v183, v184 op_sel:[0,0,1] op_sel_hi:[0,1,0] neg_lo:[0,1,0] neg_hi:[0,1,0]
	v_pk_add_f16 v109, v180, v109
	v_pk_add_f16 v175, v176, v175
	v_pk_fma_f16 v176, 0x3b29, v188, v58 op_sel:[0,0,1] op_sel_hi:[0,1,0]
	v_pk_mul_f16 v59, 0xb461, v59 op_sel_hi:[0,1]
	v_fmac_f16_e64 v202, 0xb836, v191
	v_pk_add_f16 v54, v55, v54
	v_bfi_b32 v55, 0xffff, v65, v62
	v_fma_f16 v196, v56, 0xb461, -v196
	v_pk_add_f16 v105, v177, v105
	v_pk_add_f16 v109, v181, v109
	v_alignbit_b32 v173, s0, v176, 16
	v_pk_fma_f16 v58, 0x3b29, v188, v58 op_sel:[0,0,1] op_sel_hi:[0,1,0] neg_lo:[0,1,0] neg_hi:[0,1,0]
	v_pk_fma_f16 v177, 0xbbb2, v190, v59 op_sel:[0,0,1] op_sel_hi:[0,1,0]
	v_pk_mul_f16 v56, 0x2de8, v56 op_sel_hi:[0,1]
	v_add_f16_e64 v83, v202, v83
	v_fmac_f16_e64 v198, 0xba62, v191
	v_mul_f16_e64 v202, 0x3722, v199
	v_pk_add_f16 v54, v55, v54
	v_bfi_b32 v55, 0xffff, v64, v63
	v_pk_add_f16 v66, v173, v175
	v_pk_add_f16 v58, v58, v105
	v_alignbit_b32 v69, s0, v177, 16
	v_pk_add_f16 v67, v176, v109
	v_pk_fma_f16 v59, 0xbbb2, v190, v59 op_sel:[0,0,1] op_sel_hi:[0,1,0] neg_lo:[0,1,0] neg_hi:[0,1,0]
	v_pk_fma_f16 v68, 0x3bf7, v191, v56 op_sel:[0,0,1] op_sel_hi:[0,1,0]
	v_add_f16_e64 v91, v198, v91
	v_fma_f16 v195, 0xbb29, v191, v202
	v_mul_f16_e64 v198, 0xb461, v199
	v_pk_add_f16 v54, v55, v54
	v_bfi_b32 v55, 0xffff, v61, v192
	v_pk_add_f16 v66, v69, v66
	v_pk_add_f16 v58, v59, v58
	;; [unrolled: 1-line block ×3, first 2 shown]
	v_alignbit_b32 v62, s0, v68, 16
	v_pk_fma_f16 v56, 0x3bf7, v191, v56 op_sel:[0,0,1] op_sel_hi:[0,1,0] neg_lo:[0,1,0] neg_hi:[0,1,0]
	v_fmac_f16_e64 v202, 0x3b29, v191
	v_add_f16_e64 v186, v195, v186
	v_fma_f16 v195, 0x3bb2, v191, v198
	v_fmac_f16_e64 v198, 0xbbb2, v191
	v_pk_add_f16 v54, v55, v54
	v_bfi_b32 v55, 0xffff, v60, v194
	v_pk_add_f16 v62, v62, v66
	v_pk_add_f16 v56, v56, v58
	;; [unrolled: 1-line block ×3, first 2 shown]
	v_add_f16_e64 v92, v201, v92
	v_add_f16_e64 v94, v202, v94
	;; [unrolled: 1-line block ×6, first 2 shown]
	v_pk_add_f16 v54, v55, v54
	v_bfi_b32 v55, 0xffff, v57, v197
	v_alignbit_b32 v58, v58, v56, 16
	v_pack_b32_f16 v56, v62, v56
	v_pack_b32_f16 v103, v103, v187
	;; [unrolled: 1-line block ×7, first 2 shown]
	s_barrier_signal -1
	s_barrier_wait -1
	global_inv scope:SCOPE_SE
	ds_store_2addr_b32 v112, v174, v76 offset1:1
	ds_store_2addr_b32 v112, v96, v101 offset0:2 offset1:3
	ds_store_2addr_b32 v112, v108, v98 offset0:4 offset1:5
	;; [unrolled: 1-line block ×3, first 2 shown]
	v_pack_b32_f16 v62, v71, v80
	v_pack_b32_f16 v63, v82, v83
	v_pk_add_f16 v54, v55, v54
	ds_store_2addr_b32 v112, v56, v58 offset0:8 offset1:9
	ds_store_2addr_b32 v112, v60, v59 offset0:10 offset1:11
	;; [unrolled: 1-line block ×4, first 2 shown]
	ds_store_b32 v112, v54 offset:64
	s_and_saveexec_b32 s0, vcc_lo
	s_cbranch_execz .LBB0_13
; %bb.12:
	v_add_f16_e64 v54, v48, v165
	v_sub_f16_e32 v56, v52, v29
	v_lshrrev_b32_e32 v71, 16, v128
	v_sub_f16_e32 v55, v53, v28
	v_add_f16_e64 v73, v79, v172
	v_add_f16_e32 v54, v49, v54
	v_sub_f16_e32 v59, v49, v24
	v_add_f16_e64 v69, v71, v171
	v_sub_f16_e64 v78, v171, v71
	v_mul_f16_e32 v76, 0x3b76, v73
	v_add_f16_e32 v54, v50, v54
	v_sub_f16_e64 v82, v172, v79
	v_mul_f16_e32 v75, 0xbbdd, v69
	v_mul_f16_e32 v80, 0xb1e1, v78
	v_add_f16_e64 v85, v81, v170
	v_add_f16_e32 v54, v51, v54
	v_mul_f16_e32 v83, 0x35c8, v82
	v_sub_f16_e64 v89, v170, v81
	v_add_f16_e64 v92, v84, v169
	v_mul_f16_e32 v87, 0xbacd, v85
	v_add_f16_e32 v54, v52, v54
	v_add_f16_e64 v96, v86, v168
	v_mul_f16_e32 v91, 0xb836, v89
	v_mul_f16_e32 v94, 0x39e9, v92
	v_add_f16_e64 v101, v88, v167
	v_add_f16_e32 v54, v53, v54
	v_mul_f16_e32 v98, 0xb8d2, v96
	v_add_f16_e32 v105, v90, v118
	v_sub_f16_e64 v109, v169, v84
	v_mul_f16_e32 v103, 0x3722, v101
	v_add_f16_e32 v54, v46, v54
	v_sub_f16_e64 v227, v168, v86
	v_mul_f16_e32 v108, 0xb461, v105
	v_mul_f16_e64 v226, 0x3964, v109
	v_mul_f16_e64 v229, 0xbacd, v69
	v_add_f16_e64 v54, v128, v54
	v_mul_f16_e64 v228, 0xba62, v227
	v_mul_f16_e64 v230, 0x3722, v73
	v_sub_f16_e64 v231, v167, v88
	v_mul_f16_e64 v233, 0x2de8, v85
	v_add_f16_e32 v54, v44, v54
	v_add_f16_e64 v234, v120, v121
	v_sub_f16_e64 v236, v118, v90
	v_mul_f16_e64 v232, 0x3b29, v231
	v_mul_f16_e64 v238, 0xb8d2, v92
	v_add_f16_e32 v57, v45, v54
	v_add_f16_e32 v54, v29, v52
	;; [unrolled: 1-line block ×3, first 2 shown]
	v_sub_f16_e32 v53, v51, v26
	v_mul_f16_e64 v235, 0x2de8, v234
	v_add_f16_e32 v58, v28, v57
	v_add_f16_e32 v28, v26, v51
	v_sub_f16_e32 v57, v50, v27
	v_add_f16_e32 v50, v27, v50
	v_add_f16_e32 v51, v25, v48
	v_add_f16_e32 v29, v29, v58
	v_sub_f16_e32 v58, v48, v25
	v_add_f16_e32 v48, v24, v49
	v_fma_f16 v49, 0xbb29, v59, v230
	v_mul_f16_e64 v237, 0xbbb2, v236
	v_add_f16_e32 v60, v26, v29
	v_sub_f16_e32 v29, v46, v45
	v_add_f16_e32 v26, v45, v46
	v_sub_f16_e64 v45, v128, v44
	v_mul_f16_e64 v239, 0x3b76, v96
	v_add_f16_e32 v46, v27, v60
	v_add_f16_e64 v27, v44, v128
	v_fmamk_f16 v44, v58, 0x31e1, v75
	v_mul_f16_e64 v240, 0xbbdd, v101
	v_sub_f16_e64 v241, v121, v120
	v_add_f16_e32 v24, v24, v46
	v_fmamk_f16 v46, v48, 0x3b76, v83
	v_add_f16_e64 v44, v166, v44
	v_mul_f16_e64 v243, 0x39e9, v105
	v_mul_f16_e64 v242, 0x3bf7, v241
	v_add_f16_e32 v24, v25, v24
	v_fmamk_f16 v25, v59, 0xb5c8, v76
	v_mul_f16_e64 v244, 0xb836, v78
	v_mul_f16_e64 v245, 0x3b29, v82
	v_mul_f16_e64 v246, 0xbbf7, v89
	s_clause 0x1
	scratch_store_b32 off, v24, off offset:96
	scratch_store_b32 off, v222, off offset:116
	v_add_f16_e32 v25, v25, v44
	v_fmamk_f16 v44, v51, 0xbbdd, v80
	v_fma_f16 v60, 0x3722, v48, v245
	v_mul_f16_e64 v247, 0x3a62, v109
	v_mul_f16_e64 v248, 0xb8d2, v69
	;; [unrolled: 1-line block ×3, first 2 shown]
	v_add_f16_e64 v44, v165, v44
	v_mul_f16_e64 v250, 0xb5c8, v227
	v_mul_f16_e64 v251, 0x3b76, v85
	;; [unrolled: 1-line block ×3, first 2 shown]
	v_fma_f16 v61, 0xbbb2, v59, v249
	v_add_f16_e32 v44, v46, v44
	v_fmamk_f16 v46, v57, 0x3836, v87
	v_mul_f16_e64 v253, 0xb461, v234
	v_mul_f16_e64 v254, 0xbacd, v92
	;; [unrolled: 1-line block ×3, first 2 shown]
	v_mov_b32_e32 v143, v111
	v_add_f16_e32 v25, v46, v25
	v_fmamk_f16 v46, v50, 0xbacd, v91
	v_mul_f16_e32 v111, 0x2de8, v96
	v_mul_f16_e32 v72, 0x39e9, v101
	v_mul_f16_e64 v74, 0xbbb2, v241
	v_mov_b32_e32 v144, v122
	v_add_f16_e32 v44, v46, v44
	v_fmamk_f16 v46, v53, 0xb964, v94
	v_mul_f16_e32 v122, 0x3bb2, v82
	v_dual_mov_b32 v156, v151 :: v_dual_mov_b32 v151, v100
	v_mov_b32_e32 v100, v134
	s_delay_alu instid0(VALU_DEP_4) | instskip(SKIP_4) | instid1(VALU_DEP_4)
	v_add_f16_e32 v25, v46, v25
	v_fmamk_f16 v46, v56, 0x3a62, v98
	v_fmamk_f16 v62, v48, 0xb461, v122
	v_dual_mov_b32 v134, v115 :: v_dual_mov_b32 v115, v147
	v_mov_b32_e32 v147, v125
	v_add_f16_e32 v25, v46, v25
	v_fmamk_f16 v46, v55, 0xbb29, v103
	v_mul_f16_e32 v125, 0xb461, v69
	v_dual_mov_b32 v113, v81 :: v_dual_mov_b32 v114, v86
	v_mul_f16_e32 v81, 0x39e9, v85
	s_delay_alu instid0(VALU_DEP_4) | instskip(SKIP_4) | instid1(VALU_DEP_4)
	v_add_f16_e32 v25, v46, v25
	v_fmamk_f16 v46, v29, 0x3bb2, v108
	v_mul_f16_e64 v119, 0xb964, v231
	v_mul_f16_e64 v86, 0x3722, v234
	v_dual_mov_b32 v117, v88 :: v_dual_mov_b32 v150, v129
	v_add_f16_e32 v25, v46, v25
	v_fma_f16 v46, 0x39e9, v28, v226
	v_mul_f16_e32 v88, 0x3722, v92
	v_mul_f16_e64 v132, 0xb1e1, v236
	v_mul_f16_e64 v129, 0xbbdd, v96
	;; [unrolled: 1-line block ×3, first 2 shown]
	v_add_f16_e32 v44, v46, v44
	v_fma_f16 v46, 0xb8d2, v54, v228
	v_mul_f16_e64 v225, 0x3b76, v105
	v_mul_f16_e64 v137, 0x2de8, v69
	;; [unrolled: 1-line block ×4, first 2 shown]
	v_add_f16_e32 v44, v46, v44
	v_fma_f16 v46, 0x3836, v58, v229
	v_mul_f16_e64 v220, 0xb461, v85
	v_fma_f16 v65, 0x31e1, v59, v138
	v_mul_f16_e64 v140, 0x3bf7, v231
	v_mul_f16_e64 v223, 0xb8d2, v234
	v_add_f16_e64 v46, v166, v46
	v_mul_f16_e64 v221, 0x3b76, v92
	v_mul_f16_e64 v224, 0xb5c8, v236
	;; [unrolled: 1-line block ×4, first 2 shown]
	v_add_f16_e32 v46, v49, v46
	v_fma_f16 v49, 0x3722, v52, v232
	v_mul_f16_e64 v201, 0xba62, v241
	v_mov_b32_e32 v164, v124
	v_mul_f16_e32 v124, 0xb836, v109
	v_mul_f16_e64 v207, 0xb8d2, v105
	v_add_f16_e32 v44, v49, v44
	v_fma_f16 v49, 0x3bf7, v57, v233
	v_mul_f16_e64 v222, 0x3bb2, v89
	v_mul_f16_e64 v219, 0x35c8, v109
	;; [unrolled: 1-line block ×4, first 2 shown]
	v_add_f16_e32 v46, v49, v46
	v_fma_f16 v49, 0xbbf7, v45, v235
	v_mul_f16_e64 v216, 0xbb29, v227
	v_mul_f16_e64 v215, 0xbbdd, v85
	v_fma_f16 v67, 0x3a62, v59, v218
	v_mul_f16_e64 v213, 0xb836, v231
	v_add_f16_e32 v24, v49, v25
	v_fma_f16 v49, 0xb461, v26, v237
	v_mov_b32_e32 v25, v145
	v_mov_b32_e32 v145, v123
	v_mul_f16_e32 v123, 0xb5c8, v89
	scratch_store_b32 off, v24, off offset:100 ; 4-byte Folded Spill
	v_add_f16_e32 v44, v49, v44
	v_fma_f16 v49, 0xba62, v53, v238
	v_mul_f16_e64 v214, 0x39e9, v234
	v_mul_f16_e64 v210, 0xb461, v92
	v_mov_b32_e32 v155, v149
	v_mov_b32_e32 v149, v127
	v_add_f16_e32 v46, v49, v46
	v_fma_f16 v49, 0x35c8, v56, v239
	v_mul_f16_e64 v127, 0x3bf7, v227
	v_mul_f16_e64 v189, 0x3a62, v236
	;; [unrolled: 1-line block ×4, first 2 shown]
	v_add_f16_e32 v46, v49, v46
	v_fma_f16 v49, 0x31e1, v55, v240
	v_mul_f16_e64 v184, 0x3964, v241
	v_mul_f16_e64 v186, 0x2de8, v105
	;; [unrolled: 1-line block ×4, first 2 shown]
	v_add_f16_e32 v46, v49, v46
	v_fma_f16 v49, 0x2de8, v27, v242
	v_mul_f16_e64 v200, 0x31e1, v89
	v_mul_f16_e64 v196, 0x3bb2, v109
	v_fma_f16 v68, 0xb8d2, v48, v204
	v_mul_f16_e64 v209, 0x39e9, v69
	v_add_f16_e32 v24, v49, v44
	v_fma_f16 v49, 0xb964, v29, v243
	v_mov_b32_e32 v44, v148
	v_mov_b32_e32 v148, v126
	v_mul_f16_e32 v126, 0xbacd, v73
	scratch_store_b32 off, v24, off offset:104 ; 4-byte Folded Spill
	v_add_f16_e32 v46, v49, v46
	v_fma_f16 v49, 0xbacd, v51, v244
	v_mul_f16_e64 v208, 0x2de8, v73
	v_fmamk_f16 v63, v59, 0xb836, v126
	v_mul_f16_e64 v194, 0x3964, v227
	v_mul_f16_e64 v205, 0xb8d2, v85
	v_add_f16_e64 v49, v165, v49
	v_fma_f16 v112, 0x3bf7, v59, v208
	v_mul_f16_e64 v192, 0xb5c8, v231
	v_mul_f16_e64 v191, 0xbacd, v234
	;; [unrolled: 1-line block ×3, first 2 shown]
	v_add_f16_e32 v49, v60, v49
	v_fma_f16 v60, 0x2de8, v50, v246
	v_mul_f16_e64 v193, 0xbbf7, v236
	v_mul_f16_e64 v202, 0xbacd, v96
	;; [unrolled: 1-line block ×4, first 2 shown]
	v_add_f16_e32 v49, v60, v49
	v_fma_f16 v60, 0xb8d2, v28, v247
	v_mul_f16_e64 v185, 0xb964, v78
	v_mul_f16_e64 v179, 0xbbf7, v82
	;; [unrolled: 1-line block ×4, first 2 shown]
	v_add_f16_e32 v49, v60, v49
	v_fma_f16 v60, 0x3a62, v58, v248
	v_fma_f16 v173, 0x2de8, v48, v179
	v_mul_f16_e64 v174, 0xb1e1, v109
	v_mul_f16_e64 v181, 0x39e9, v73
	v_fma_f16 v69, 0x35c8, v58, v190
	v_add_f16_e64 v60, v166, v60
	v_mul_f16_e64 v177, 0x3836, v227
	v_mul_f16_e64 v183, 0x3722, v85
	v_fma_f16 v73, 0x3964, v59, v181
	v_add_f16_e64 v69, v166, v69
	v_add_f16_e32 v60, v61, v60
	v_fma_f16 v61, 0x3b76, v54, v250
	v_fma_f16 v85, 0x3b29, v57, v183
	v_mul_f16_e64 v176, 0x3bb2, v231
	v_add_f16_e32 v69, v73, v69
	v_fma_f16 v73, 0xbacd, v54, v177
	v_add_f16_e32 v49, v61, v49
	v_fma_f16 v61, 0x35c8, v57, v251
	v_mul_f16_e64 v182, 0x2de8, v92
	v_add_f16_e32 v69, v85, v69
	v_fma_f16 v85, 0xb461, v52, v176
	v_mul_f16_e64 v175, 0x3b29, v236
	;; [unrolled: 3-line block ×3, first 2 shown]
	v_mul_f16_e64 v199, 0xb5c8, v78
	v_mul_f16_e64 v195, 0xbb29, v89
	v_fmac_f16_e32 v75, 0xb1e1, v58
	v_add_f16_e32 v49, v61, v49
	v_fma_f16 v61, 0x3bb2, v45, v253
	v_fmac_f16_e32 v76, 0x35c8, v59
	v_fmac_f16_e32 v87, 0xb836, v57
	v_add_f16_e64 v75, v166, v75
	v_fmac_f16_e32 v94, 0x3964, v53
	v_add_f16_e32 v24, v61, v46
	v_fma_f16 v61, 0x3836, v53, v254
	v_fmac_f16_e32 v98, 0xba62, v56
	v_add_f16_e32 v75, v76, v75
	v_fmac_f16_e32 v103, 0x3b29, v55
	scratch_store_b32 off, v24, off offset:108 ; 4-byte Folded Spill
	v_add_f16_e32 v60, v61, v60
	v_fma_f16 v61, 0x39e9, v26, v255
	v_add_f16_e32 v75, v87, v75
	v_fmac_f16_e32 v108, 0xbbb2, v29
	v_fmac_f16_e64 v229, 0xb836, v58
	v_fmac_f16_e64 v230, 0x3b29, v59
	v_add_f16_e32 v49, v61, v49
	v_fmamk_f16 v61, v56, 0xbbf7, v111
	v_add_f16_e32 v75, v94, v75
	v_fmac_f16_e64 v233, 0xbbf7, v57
	v_fmac_f16_e64 v235, 0x3bf7, v45
	v_fmac_f16_e64 v238, 0x3a62, v53
	v_add_f16_e32 v60, v61, v60
	v_fmamk_f16 v61, v55, 0x3964, v72
	v_add_f16_e32 v75, v98, v75
	v_fmac_f16_e64 v248, 0xba62, v58
	v_fmac_f16_e64 v249, 0x3bb2, v59
	v_fmac_f16_e64 v251, 0xb5c8, v57
	v_add_f16_e32 v60, v61, v60
	v_fmamk_f16 v61, v27, 0xb461, v74
	v_add_f16_e32 v75, v103, v75
	v_fmac_f16_e64 v254, 0xb836, v53
	v_fmac_f16_e32 v111, 0x3bf7, v56
	v_fmac_f16_e32 v72, 0xb964, v55
	v_add_f16_e32 v24, v61, v49
	s_clause 0x1
	scratch_store_b32 off, v24, off offset:112
	scratch_store_b32 off, v77, off offset:120
	v_mul_f16_e32 v77, 0xbbdd, v105
	v_mov_b32_e32 v24, v116
	v_mul_f16_e32 v116, 0xba62, v78
	v_dual_mov_b32 v49, v152 :: v_dual_mov_b32 v152, v131
	s_delay_alu instid0(VALU_DEP_4)
	v_fmamk_f16 v61, v29, 0x31e1, v77
	v_mul_f16_e64 v131, 0xbbb2, v78
	v_fma_f16 v74, v27, 0xb461, -v74
	v_fmac_f16_e32 v126, 0x3836, v59
	v_fmac_f16_e32 v77, 0xb1e1, v29
	v_add_f16_e32 v60, v61, v60
	v_fmamk_f16 v61, v51, 0xb8d2, v116
	v_fmac_f16_e64 v138, 0xb1e1, v59
	v_fmac_f16_e64 v218, 0xba62, v59
	;; [unrolled: 1-line block ×4, first 2 shown]
	v_add_f16_e64 v61, v165, v61
	v_fma_f16 v59, v51, 0x39e9, -v185
	v_fmac_f16_e64 v183, 0xbb29, v57
	v_fmac_f16_e64 v243, 0x3964, v29
	v_fmac_f16_e64 v190, 0xb5c8, v58
	v_add_f16_e32 v61, v62, v61
	v_fmamk_f16 v62, v50, 0x3b76, v123
	v_add_f16_e64 v59, v165, v59
	v_fmac_f16_e64 v253, 0xbbb2, v45
	v_fmac_f16_e64 v240, 0xb1e1, v55
	;; [unrolled: 1-line block ×3, first 2 shown]
	v_add_f16_e32 v61, v62, v61
	v_fmamk_f16 v62, v28, 0xbacd, v124
	scratch_store_b32 off, v93, off offset:92 ; 4-byte Folded Spill
	v_mul_f16_e32 v93, 0x2de8, v101
	v_add_f16_e32 v61, v62, v61
	v_fmamk_f16 v62, v58, 0x3bb2, v125
	v_fmac_f16_e32 v125, 0xbbb2, v58
	s_delay_alu instid0(VALU_DEP_2) | instskip(NEXT) | instid1(VALU_DEP_1)
	v_add_f16_e64 v62, v166, v62
	v_add_f16_e32 v62, v63, v62
	v_fmamk_f16 v63, v54, 0x2de8, v127
	s_delay_alu instid0(VALU_DEP_1) | instskip(SKIP_2) | instid1(VALU_DEP_2)
	v_add_f16_e32 v61, v63, v61
	v_fmamk_f16 v63, v57, 0xb964, v81
	v_fmac_f16_e32 v81, 0x3964, v57
	v_add_f16_e32 v62, v63, v62
	v_fmamk_f16 v63, v52, 0x39e9, v119
	s_delay_alu instid0(VALU_DEP_1) | instskip(SKIP_2) | instid1(VALU_DEP_2)
	v_add_f16_e32 v61, v63, v61
	v_fmamk_f16 v63, v45, 0xbb29, v86
	v_fmac_f16_e32 v86, 0x3b29, v45
	v_add_f16_e32 v46, v63, v60
	v_fmamk_f16 v63, v53, 0x3b29, v88
	v_mov_b32_e32 v60, v154
	v_mov_b32_e32 v154, v135
	v_mul_f16_e64 v135, 0x3964, v89
	scratch_store_b32 off, v46, off offset:124 ; 4-byte Folded Spill
	v_add_f16_e32 v62, v63, v62
	v_fma_f16 v63, 0xbbdd, v26, v132
	v_fmac_f16_e32 v88, 0xbb29, v53
	s_delay_alu instid0(VALU_DEP_2) | instskip(SKIP_2) | instid1(VALU_DEP_2)
	v_add_f16_e32 v61, v63, v61
	v_fma_f16 v63, 0x31e1, v56, v129
	v_fmac_f16_e64 v129, 0xb1e1, v56
	v_add_f16_e32 v62, v63, v62
	v_fmamk_f16 v63, v55, 0xbbf7, v93
	v_fmac_f16_e32 v93, 0x3bf7, v55
	s_delay_alu instid0(VALU_DEP_2) | instskip(SKIP_1) | instid1(VALU_DEP_1)
	v_add_f16_e32 v62, v63, v62
	v_fma_f16 v63, 0x3722, v27, v130
	v_add_f16_e32 v46, v63, v61
	v_fma_f16 v63, 0x35c8, v29, v225
	v_mov_b32_e32 v61, v136
	v_mul_f16_e64 v136, 0xbb29, v109
	v_fmac_f16_e64 v225, 0xb5c8, v29
	scratch_store_b32 off, v46, off offset:128 ; 4-byte Folded Spill
	v_add_f16_e32 v62, v63, v62
	v_fma_f16 v63, 0xb461, v51, v131
	v_dual_mov_b32 v46, v153 :: v_dual_mov_b32 v153, v133
	v_mul_f16_e64 v133, 0x3836, v82
	s_delay_alu instid0(VALU_DEP_3) | instskip(NEXT) | instid1(VALU_DEP_2)
	v_add_f16_e64 v63, v165, v63
	v_fma_f16 v64, 0xbacd, v48, v133
	s_delay_alu instid0(VALU_DEP_1) | instskip(SKIP_1) | instid1(VALU_DEP_1)
	v_add_f16_e32 v63, v64, v63
	v_fma_f16 v64, 0x39e9, v50, v135
	v_add_f16_e32 v63, v64, v63
	v_fma_f16 v64, 0x3722, v28, v136
	s_delay_alu instid0(VALU_DEP_1) | instskip(SKIP_2) | instid1(VALU_DEP_2)
	v_add_f16_e32 v63, v64, v63
	v_fma_f16 v64, 0x3bf7, v58, v137
	v_fmac_f16_e64 v137, 0xbbf7, v58
	v_add_f16_e64 v64, v166, v64
	s_delay_alu instid0(VALU_DEP_1) | instskip(SKIP_1) | instid1(VALU_DEP_1)
	v_add_f16_e32 v64, v65, v64
	v_fma_f16 v65, 0xbbdd, v54, v139
	v_add_f16_e32 v63, v65, v63
	v_fma_f16 v65, 0xbbb2, v57, v220
	v_fmac_f16_e64 v220, 0x3bb2, v57
	s_delay_alu instid0(VALU_DEP_2) | instskip(SKIP_1) | instid1(VALU_DEP_1)
	v_add_f16_e32 v64, v65, v64
	v_fma_f16 v65, 0x2de8, v52, v140
	v_add_f16_e32 v63, v65, v63
	v_fma_f16 v65, 0x3a62, v45, v223
	v_fmac_f16_e64 v223, 0xba62, v45
	s_delay_alu instid0(VALU_DEP_2)
	v_add_f16_e32 v62, v65, v62
	v_fma_f16 v65, 0xb5c8, v53, v221
	v_fmac_f16_e64 v221, 0x35c8, v53
	scratch_store_b32 off, v62, off offset:132 ; 4-byte Folded Spill
	v_add_f16_e32 v64, v65, v64
	v_fma_f16 v65, 0x3b76, v26, v224
	s_delay_alu instid0(VALU_DEP_1) | instskip(SKIP_2) | instid1(VALU_DEP_2)
	v_add_f16_e32 v63, v65, v63
	v_fma_f16 v65, 0x3b29, v56, v212
	v_fmac_f16_e64 v212, 0xbb29, v56
	v_add_f16_e32 v64, v65, v64
	v_fma_f16 v65, 0x3836, v55, v211
	v_fmac_f16_e64 v211, 0xb836, v55
	s_delay_alu instid0(VALU_DEP_2) | instskip(SKIP_1) | instid1(VALU_DEP_1)
	v_add_f16_e32 v64, v65, v64
	v_fma_f16 v65, 0xb8d2, v27, v201
	v_add_f16_e32 v62, v65, v63
	v_fma_f16 v65, 0xba62, v29, v207
	v_mov_b32_e32 v63, v142
	v_mul_f16_e64 v142, 0xb1e1, v82
	v_fmac_f16_e64 v207, 0x3a62, v29
	scratch_store_b32 off, v62, off offset:136 ; 4-byte Folded Spill
	v_mov_b32_e32 v62, v141
	v_mul_f16_e64 v141, 0xbbf7, v78
	v_add_f16_e32 v64, v65, v64
	v_fma_f16 v66, 0xbbdd, v48, v142
	v_fma_f16 v78, 0x3b76, v51, v199
	s_delay_alu instid0(VALU_DEP_4) | instskip(NEXT) | instid1(VALU_DEP_2)
	v_fma_f16 v65, 0x2de8, v51, v141
	v_add_f16_e64 v78, v165, v78
	s_delay_alu instid0(VALU_DEP_2) | instskip(NEXT) | instid1(VALU_DEP_1)
	v_add_f16_e64 v65, v165, v65
	v_add_f16_e32 v65, v66, v65
	v_fma_f16 v66, 0xb461, v50, v222
	s_delay_alu instid0(VALU_DEP_1) | instskip(SKIP_1) | instid1(VALU_DEP_1)
	v_add_f16_e32 v65, v66, v65
	v_fma_f16 v66, 0x3b76, v28, v219
	v_add_f16_e32 v65, v66, v65
	v_fma_f16 v66, 0x3b29, v58, v217
	v_fmac_f16_e64 v217, 0xbb29, v58
	s_delay_alu instid0(VALU_DEP_2) | instskip(NEXT) | instid1(VALU_DEP_1)
	v_add_f16_e64 v66, v166, v66
	v_add_f16_e32 v66, v67, v66
	v_fma_f16 v67, 0x3722, v54, v216
	s_delay_alu instid0(VALU_DEP_1) | instskip(SKIP_2) | instid1(VALU_DEP_2)
	v_add_f16_e32 v65, v67, v65
	v_fma_f16 v67, 0xb1e1, v57, v215
	v_fmac_f16_e64 v215, 0x31e1, v57
	v_add_f16_e32 v66, v67, v66
	v_fma_f16 v67, 0xbacd, v52, v213
	s_delay_alu instid0(VALU_DEP_1) | instskip(SKIP_2) | instid1(VALU_DEP_2)
	v_add_f16_e32 v65, v67, v65
	v_fma_f16 v67, 0xb964, v45, v214
	v_fmac_f16_e64 v214, 0x3964, v45
	v_add_f16_e32 v64, v67, v64
	v_fma_f16 v67, 0xbbb2, v53, v210
	v_fmac_f16_e64 v210, 0x3bb2, v53
	s_delay_alu instid0(VALU_DEP_2) | instskip(SKIP_1) | instid1(VALU_DEP_1)
	v_add_f16_e32 v66, v67, v66
	v_fma_f16 v67, 0xb8d2, v26, v189
	v_add_f16_e32 v65, v67, v65
	v_fma_f16 v67, 0xb964, v56, v197
	v_fmac_f16_e64 v197, 0x3964, v56
	s_delay_alu instid0(VALU_DEP_2) | instskip(SKIP_2) | instid1(VALU_DEP_2)
	v_add_f16_e32 v66, v67, v66
	v_fma_f16 v67, 0x35c8, v55, v188
	v_fmac_f16_e64 v188, 0xb5c8, v55
	v_add_f16_e32 v66, v67, v66
	v_fma_f16 v67, 0x39e9, v27, v184
	s_delay_alu instid0(VALU_DEP_1) | instskip(SKIP_2) | instid1(VALU_DEP_2)
	v_add_f16_e32 v65, v67, v65
	v_fma_f16 v67, 0x3bf7, v29, v186
	v_fmac_f16_e64 v186, 0xbbf7, v29
	v_add_f16_e32 v66, v67, v66
	v_fma_f16 v67, 0x3722, v51, v203
	s_delay_alu instid0(VALU_DEP_1) | instskip(NEXT) | instid1(VALU_DEP_1)
	v_add_f16_e64 v67, v165, v67
	v_add_f16_e32 v67, v68, v67
	v_fma_f16 v68, 0xbbdd, v50, v200
	s_delay_alu instid0(VALU_DEP_1) | instskip(SKIP_1) | instid1(VALU_DEP_1)
	v_add_f16_e32 v67, v68, v67
	v_fma_f16 v68, 0xb461, v28, v196
	v_add_f16_e32 v67, v68, v67
	v_fma_f16 v68, 0x3964, v58, v209
	v_fmac_f16_e64 v209, 0xb964, v58
	s_delay_alu instid0(VALU_DEP_2) | instskip(NEXT) | instid1(VALU_DEP_1)
	v_add_f16_e64 v68, v166, v68
	v_add_f16_e32 v68, v112, v68
	v_fma_f16 v112, 0x39e9, v54, v194
	s_delay_alu instid0(VALU_DEP_1) | instskip(SKIP_3) | instid1(VALU_DEP_3)
	v_add_f16_e32 v67, v112, v67
	v_fma_f16 v112, 0x3a62, v57, v205
	v_fmac_f16_e64 v205, 0xba62, v57
	v_fma_f16 v57, v50, 0xb8d2, -v178
	v_add_f16_e32 v68, v112, v68
	v_fma_f16 v112, 0x3b76, v52, v192
	s_delay_alu instid0(VALU_DEP_1) | instskip(SKIP_2) | instid1(VALU_DEP_2)
	v_add_f16_e32 v67, v112, v67
	v_fma_f16 v112, 0x3836, v45, v191
	v_fmac_f16_e64 v191, 0xb836, v45
	v_add_f16_e32 v66, v112, v66
	v_fma_f16 v112, 0x31e1, v53, v206
	v_fmac_f16_e64 v206, 0xb1e1, v53
	s_delay_alu instid0(VALU_DEP_2) | instskip(SKIP_1) | instid1(VALU_DEP_1)
	v_add_f16_e32 v68, v112, v68
	v_fma_f16 v112, 0x2de8, v26, v193
	v_add_f16_e32 v67, v112, v67
	v_fma_f16 v112, 0xb836, v56, v202
	v_fmac_f16_e64 v202, 0x3836, v56
	s_delay_alu instid0(VALU_DEP_2) | instskip(SKIP_2) | instid1(VALU_DEP_2)
	v_add_f16_e32 v68, v112, v68
	v_fma_f16 v112, 0xbbb2, v55, v198
	v_fmac_f16_e64 v198, 0x3bb2, v55
	v_add_f16_e32 v112, v112, v68
	v_mul_f16_e64 v68, 0xb836, v241
	s_delay_alu instid0(VALU_DEP_1) | instskip(NEXT) | instid1(VALU_DEP_1)
	v_fma_f16 v128, 0xbacd, v27, v68
	v_add_f16_e64 v67, v128, v67
	v_fma_f16 v128, 0xbb29, v29, v187
	v_fmac_f16_e64 v187, 0x3b29, v29
	s_delay_alu instid0(VALU_DEP_2) | instskip(SKIP_1) | instid1(VALU_DEP_1)
	v_add_f16_e64 v112, v128, v112
	v_fma_f16 v128, 0x39e9, v51, v185
	v_add_f16_e64 v128, v165, v128
	s_delay_alu instid0(VALU_DEP_1) | instskip(SKIP_1) | instid1(VALU_DEP_1)
	v_add_f16_e64 v128, v173, v128
	v_fma_f16 v173, 0xb8d2, v50, v178
	v_add_f16_e64 v128, v173, v128
	v_fma_f16 v173, 0xbbdd, v28, v174
	s_delay_alu instid0(VALU_DEP_1) | instskip(SKIP_1) | instid1(VALU_DEP_2)
	v_add_f16_e64 v128, v173, v128
	v_mul_f16_e64 v173, 0x35c8, v241
	v_add_f16_e64 v73, v73, v128
	v_mul_f16_e64 v128, 0x3b76, v234
	s_delay_alu instid0(VALU_DEP_3) | instskip(NEXT) | instid1(VALU_DEP_3)
	v_fma_f16 v92, 0x3b76, v27, v173
	v_add_f16_e32 v73, v85, v73
	v_fma_f16 v85, 0x3bf7, v53, v182
	v_fmac_f16_e64 v182, 0xbbf7, v53
	s_delay_alu instid0(VALU_DEP_2) | instskip(SKIP_1) | instid1(VALU_DEP_1)
	v_add_f16_e32 v69, v85, v69
	v_fma_f16 v85, 0x3722, v26, v175
	v_add_f16_e32 v73, v85, v73
	v_fma_f16 v85, 0x3bb2, v56, v180
	v_fmac_f16_e64 v180, 0xbbb2, v56
	s_delay_alu instid0(VALU_DEP_2) | instskip(SKIP_2) | instid1(VALU_DEP_2)
	v_add_f16_e32 v85, v85, v69
	v_fma_f16 v69, 0xb5c8, v45, v128
	v_fmac_f16_e64 v128, 0x35c8, v45
	v_add_f16_e32 v69, v69, v112
	v_add_f16_e32 v112, v92, v73
	v_add_f16_e64 v73, v171, v166
	v_mul_f16_e64 v171, 0xb8d2, v101
	s_delay_alu instid0(VALU_DEP_2) | instskip(NEXT) | instid1(VALU_DEP_2)
	v_add_f16_e64 v73, v172, v73
	v_fma_f16 v92, 0x3a62, v55, v171
	v_mul_f16_e64 v172, 0xbbf7, v109
	v_fmac_f16_e64 v171, 0xba62, v55
	v_pack_b32_f16 v55, v65, v64
	v_add_f16_e64 v73, v170, v73
	v_mul_f16_e64 v170, 0xb964, v82
	v_add_f16_e32 v85, v92, v85
	s_delay_alu instid0(VALU_DEP_3) | instskip(NEXT) | instid1(VALU_DEP_3)
	v_add_f16_e64 v73, v169, v73
	v_fma_f16 v82, 0x39e9, v48, v170
	v_mul_f16_e64 v169, 0xbacd, v105
	s_delay_alu instid0(VALU_DEP_3) | instskip(NEXT) | instid1(VALU_DEP_3)
	v_add_f16_e64 v73, v168, v73
	v_add_f16_e32 v78, v82, v78
	s_delay_alu instid0(VALU_DEP_3)
	v_fma_f16 v82, 0x3836, v29, v169
	v_mul_f16_e64 v168, 0xba62, v231
	v_fmac_f16_e64 v169, 0xb836, v29
	v_add_f16_e64 v73, v167, v73
	v_mul_f16_e64 v167, 0xbbb2, v227
	v_add_f16_e32 v82, v82, v85
	v_fma_f16 v85, 0x3722, v50, v195
	v_fma_f16 v29, v52, 0xb8d2, -v168
	v_add_f16_e32 v73, v118, v73
	v_mul_f16_e64 v118, 0xb836, v236
	s_delay_alu instid0(VALU_DEP_4) | instskip(SKIP_1) | instid1(VALU_DEP_4)
	v_add_f16_e32 v78, v85, v78
	v_fma_f16 v85, 0x2de8, v28, v172
	v_add_f16_e32 v73, v121, v73
	v_mul_f16_e64 v121, 0xbbdd, v234
	s_delay_alu instid0(VALU_DEP_3) | instskip(SKIP_1) | instid1(VALU_DEP_4)
	v_add_f16_e32 v78, v85, v78
	v_fma_f16 v85, 0xb461, v54, v167
	v_add_f16_e32 v73, v120, v73
	v_mul_f16_e64 v120, 0xb1e1, v241
	s_delay_alu instid0(VALU_DEP_3) | instskip(SKIP_1) | instid1(VALU_DEP_4)
	v_add_f16_e32 v78, v85, v78
	v_fmamk_f16 v85, v45, 0x31e1, v121
	v_add_f16_e32 v73, v90, v73
	s_delay_alu instid0(VALU_DEP_4)
	v_fmamk_f16 v76, v27, 0xbbdd, v120
	v_fmac_f16_e32 v121, 0xb1e1, v45
	v_fma_f16 v45, v27, 0x3b76, -v173
	v_add_f16_e32 v85, v85, v82
	v_fma_f16 v82, 0xb8d2, v52, v168
	v_add_f16_e32 v73, v117, v73
	s_delay_alu instid0(VALU_DEP_2) | instskip(SKIP_1) | instid1(VALU_DEP_3)
	v_add_f16_e32 v78, v82, v78
	v_fmamk_f16 v82, v26, 0xbacd, v118
	v_add_f16_e32 v73, v114, v73
	s_delay_alu instid0(VALU_DEP_2) | instskip(NEXT) | instid1(VALU_DEP_2)
	v_add_f16_e32 v78, v82, v78
	v_add_f16_e32 v73, v84, v73
	v_fma_f16 v82, v48, 0xb8d2, -v204
	s_delay_alu instid0(VALU_DEP_3)
	v_add_f16_e32 v117, v76, v78
	v_fma_f16 v76, v51, 0xbbdd, -v80
	v_fma_f16 v78, v48, 0x3b76, -v83
	v_add_f16_e32 v73, v113, v73
	v_fma_f16 v80, v48, 0xbbdd, -v142
	v_fma_f16 v83, v26, 0xb8d2, -v189
	v_add_f16_e64 v76, v165, v76
	v_mov_b32_e32 v142, v63
	v_add_f16_e32 v73, v79, v73
	v_fma_f16 v79, v48, 0xb461, -v122
	v_mov_b32_e32 v122, v144
	v_add_f16_e32 v76, v78, v76
	v_fma_f16 v78, v50, 0xbacd, -v91
	v_add_f16_e32 v113, v71, v73
	v_add_f16_e32 v71, v108, v75
	v_fma_f16 v73, v54, 0xb8d2, -v228
	v_add_f16_e64 v75, v166, v229
	v_add_f16_e32 v76, v78, v76
	v_fma_f16 v78, v28, 0x39e9, -v226
	v_add_f16_e64 v114, v235, v71
	v_fma_f16 v71, v26, 0xb461, -v237
	v_add_f16_e64 v75, v230, v75
	s_delay_alu instid0(VALU_DEP_4) | instskip(SKIP_1) | instid1(VALU_DEP_3)
	v_add_f16_e32 v76, v78, v76
	v_fma_f16 v78, v27, 0x2de8, -v242
	v_add_f16_e64 v75, v233, v75
	s_delay_alu instid0(VALU_DEP_3) | instskip(SKIP_1) | instid1(VALU_DEP_1)
	v_add_f16_e32 v73, v73, v76
	v_fma_f16 v76, v52, 0x3722, -v232
	v_add_f16_e32 v73, v76, v73
	v_fma_f16 v76, v48, 0x3722, -v245
	s_delay_alu instid0(VALU_DEP_2) | instskip(SKIP_2) | instid1(VALU_DEP_3)
	v_add_f16_e32 v71, v71, v73
	v_add_f16_e64 v73, v238, v75
	v_fma_f16 v75, v51, 0xbacd, -v244
	v_add_f16_e32 v71, v78, v71
	v_fma_f16 v78, v54, 0x3b76, -v250
	s_delay_alu instid0(VALU_DEP_3) | instskip(SKIP_1) | instid1(VALU_DEP_2)
	v_add_f16_e64 v75, v165, v75
	v_add_f16_e64 v73, v239, v73
	v_add_f16_e32 v75, v76, v75
	v_fma_f16 v76, v50, 0x2de8, -v246
	s_delay_alu instid0(VALU_DEP_3) | instskip(NEXT) | instid1(VALU_DEP_2)
	v_add_f16_e64 v73, v240, v73
	v_add_f16_e32 v75, v76, v75
	v_fma_f16 v76, v28, 0xb8d2, -v247
	s_delay_alu instid0(VALU_DEP_3) | instskip(NEXT) | instid1(VALU_DEP_2)
	v_add_f16_e64 v73, v243, v73
	v_add_f16_e32 v75, v76, v75
	v_add_f16_e64 v76, v166, v248
	s_delay_alu instid0(VALU_DEP_3) | instskip(NEXT) | instid1(VALU_DEP_3)
	v_add_f16_e64 v73, v253, v73
	v_add_f16_e32 v75, v78, v75
	s_delay_alu instid0(VALU_DEP_3) | instskip(SKIP_1) | instid1(VALU_DEP_2)
	v_add_f16_e64 v76, v249, v76
	v_fma_f16 v78, v52, 0xbbdd, -v252
	v_add_f16_e64 v76, v251, v76
	s_delay_alu instid0(VALU_DEP_2) | instskip(SKIP_1) | instid1(VALU_DEP_3)
	v_add_f16_e32 v75, v78, v75
	v_fma_f16 v78, v26, 0x39e9, -v255
	v_add_f16_e64 v76, v254, v76
	s_delay_alu instid0(VALU_DEP_2) | instskip(SKIP_2) | instid1(VALU_DEP_4)
	v_add_f16_e32 v75, v78, v75
	v_fma_f16 v78, v51, 0xb8d2, -v116
	v_mov_b32_e32 v116, v24
	v_add_f16_e32 v76, v111, v76
	v_mov_b32_e32 v111, v143
	v_add_f16_e32 v74, v74, v75
	v_add_f16_e64 v78, v165, v78
	v_fma_f16 v75, v28, 0xbacd, -v124
	v_add_f16_e32 v72, v72, v76
	v_fma_f16 v76, v50, 0x3b76, -v123
	v_mov_b32_e32 v123, v145
	v_add_f16_e32 v78, v79, v78
	v_mov_b32_e32 v145, v25
	v_add_f16_e32 v72, v77, v72
	v_fma_f16 v77, v54, 0x2de8, -v127
	v_fma_f16 v79, v52, 0x2de8, -v140
	v_add_f16_e32 v76, v76, v78
	v_fma_f16 v78, v48, 0xbacd, -v133
	v_dual_mov_b32 v124, v164 :: v_dual_mov_b32 v133, v153
	v_mov_b32_e32 v153, v46
	s_delay_alu instid0(VALU_DEP_4)
	v_add_f16_e32 v75, v75, v76
	v_add_f16_e64 v76, v166, v125
	v_mov_b32_e32 v125, v147
	v_mov_b32_e32 v147, v115
	;; [unrolled: 1-line block ×3, first 2 shown]
	v_add_f16_e32 v75, v77, v75
	v_add_f16_e32 v76, v126, v76
	v_fma_f16 v77, v52, 0x39e9, -v119
	v_mov_b32_e32 v134, v100
	v_dual_mov_b32 v100, v151 :: v_dual_mov_b32 v151, v156
	v_mov_b32_e32 v126, v148
	v_add_f16_e32 v76, v81, v76
	v_add_f16_e32 v75, v77, v75
	v_fma_f16 v77, v51, 0xb461, -v131
	v_fma_f16 v81, v54, 0x3722, -v216
	v_dual_mov_b32 v148, v44 :: v_dual_mov_b32 v127, v149
	v_add_f16_e32 v76, v88, v76
	s_delay_alu instid0(VALU_DEP_4) | instskip(SKIP_2) | instid1(VALU_DEP_4)
	v_add_f16_e64 v77, v165, v77
	v_mov_b32_e32 v149, v155
	v_dual_mov_b32 v131, v152 :: v_dual_mov_b32 v152, v49
	v_add_f16_e64 v76, v129, v76
	s_delay_alu instid0(VALU_DEP_4)
	v_add_f16_e32 v77, v78, v77
	v_fma_f16 v78, v26, 0xbbdd, -v132
	v_add_f16_e32 v72, v86, v72
	v_mov_b32_e32 v129, v150
	v_add_f16_e32 v76, v93, v76
	s_clause 0x2
	scratch_load_b32 v93, off, off offset:92
	scratch_load_b32 v24, off, off offset:116 th:TH_LOAD_LU
	scratch_load_b32 v25, off, off offset:120 th:TH_LOAD_LU
	v_add_f16_e32 v75, v78, v75
	v_fma_f16 v78, v50, 0x39e9, -v135
	v_add_f16_e64 v76, v225, v76
	v_lshrrev_b32_e32 v150, 16, v18
	v_dual_mov_b32 v135, v154 :: v_dual_mov_b32 v154, v60
	s_delay_alu instid0(VALU_DEP_4) | instskip(SKIP_4) | instid1(VALU_DEP_4)
	v_add_f16_e32 v77, v78, v77
	v_fma_f16 v78, v28, 0x3722, -v136
	v_add_f16_e64 v76, v223, v76
	v_mov_b32_e32 v136, v61
	v_lshrrev_b32_e32 v140, 16, v41
	v_add_f16_e32 v77, v78, v77
	v_fma_f16 v78, v27, 0x3722, -v130
	v_lshrrev_b32_e32 v130, 16, v35
	s_delay_alu instid0(VALU_DEP_2) | instskip(SKIP_1) | instid1(VALU_DEP_1)
	v_add_f16_e32 v75, v78, v75
	v_fma_f16 v78, v54, 0xbbdd, -v139
	v_add_f16_e32 v77, v78, v77
	v_add_f16_e64 v78, v166, v137
	v_lshrrev_b32_e32 v137, 16, v14
	s_delay_alu instid0(VALU_DEP_3) | instskip(SKIP_1) | instid1(VALU_DEP_4)
	v_add_f16_e32 v77, v79, v77
	v_fma_f16 v79, v26, 0x3b76, -v224
	v_add_f16_e64 v78, v138, v78
	v_lshrrev_b32_e32 v138, 16, v13
	s_delay_alu instid0(VALU_DEP_3) | instskip(SKIP_1) | instid1(VALU_DEP_4)
	v_add_f16_e32 v77, v79, v77
	v_fma_f16 v79, v51, 0x2de8, -v141
	v_add_f16_e64 v78, v220, v78
	v_mov_b32_e32 v141, v62
	s_delay_alu instid0(VALU_DEP_3) | instskip(NEXT) | instid1(VALU_DEP_3)
	v_add_f16_e64 v79, v165, v79
	v_add_f16_e64 v78, v221, v78
	s_delay_alu instid0(VALU_DEP_2) | instskip(SKIP_1) | instid1(VALU_DEP_3)
	v_add_f16_e32 v79, v80, v79
	v_fma_f16 v80, v50, 0xb461, -v222
	v_add_f16_e64 v78, v212, v78
	s_delay_alu instid0(VALU_DEP_2) | instskip(SKIP_1) | instid1(VALU_DEP_3)
	v_add_f16_e32 v79, v80, v79
	v_fma_f16 v80, v28, 0x3b76, -v219
	v_add_f16_e64 v78, v211, v78
	s_delay_alu instid0(VALU_DEP_2) | instskip(SKIP_1) | instid1(VALU_DEP_3)
	v_add_f16_e32 v79, v80, v79
	v_add_f16_e64 v80, v166, v217
	v_add_f16_e64 v78, v207, v78
	s_delay_alu instid0(VALU_DEP_3) | instskip(SKIP_1) | instid1(VALU_DEP_4)
	v_add_f16_e32 v79, v81, v79
	v_fma_f16 v81, v27, 0xb8d2, -v201
	v_add_f16_e64 v80, v218, v80
	s_delay_alu instid0(VALU_DEP_4) | instskip(NEXT) | instid1(VALU_DEP_3)
	v_add_f16_e64 v78, v214, v78
	v_add_f16_e32 v77, v81, v77
	v_fma_f16 v81, v52, 0xbacd, -v213
	s_delay_alu instid0(VALU_DEP_4) | instskip(NEXT) | instid1(VALU_DEP_2)
	v_add_f16_e64 v80, v215, v80
	v_add_f16_e32 v79, v81, v79
	v_fma_f16 v81, v51, 0x3722, -v203
	v_fma_f16 v51, v51, 0x3b76, -v199
	s_delay_alu instid0(VALU_DEP_4) | instskip(NEXT) | instid1(VALU_DEP_4)
	v_add_f16_e64 v80, v210, v80
	v_add_f16_e32 v79, v83, v79
	s_delay_alu instid0(VALU_DEP_4)
	v_add_f16_e64 v81, v165, v81
	v_fma_f16 v83, v50, 0xbbdd, -v200
	v_add_f16_e64 v51, v165, v51
	v_fma_f16 v50, v50, 0x3722, -v195
	v_add_f16_e64 v80, v197, v80
	v_add_f16_e32 v81, v82, v81
	v_add_f16_e64 v82, v166, v209
	s_delay_alu instid0(VALU_DEP_3) | instskip(NEXT) | instid1(VALU_DEP_3)
	v_add_f16_e64 v80, v188, v80
	v_add_f16_e32 v81, v83, v81
	v_fma_f16 v83, v28, 0xb461, -v196
	s_delay_alu instid0(VALU_DEP_4) | instskip(NEXT) | instid1(VALU_DEP_4)
	v_add_f16_e64 v82, v208, v82
	v_add_f16_e64 v80, v186, v80
	s_delay_alu instid0(VALU_DEP_3) | instskip(SKIP_1) | instid1(VALU_DEP_4)
	v_add_f16_e32 v81, v83, v81
	v_fma_f16 v83, v54, 0x39e9, -v194
	v_add_f16_e64 v82, v205, v82
	s_delay_alu instid0(VALU_DEP_4) | instskip(NEXT) | instid1(VALU_DEP_3)
	v_add_f16_e64 v80, v191, v80
	v_add_f16_e32 v81, v83, v81
	v_fma_f16 v83, v27, 0x39e9, -v184
	s_delay_alu instid0(VALU_DEP_4) | instskip(NEXT) | instid1(VALU_DEP_2)
	v_add_f16_e64 v82, v206, v82
	v_add_f16_e32 v79, v83, v79
	v_fma_f16 v83, v52, 0x3b76, -v192
	s_delay_alu instid0(VALU_DEP_3) | instskip(NEXT) | instid1(VALU_DEP_2)
	v_add_f16_e64 v82, v202, v82
	v_add_f16_e32 v81, v83, v81
	v_fma_f16 v83, v26, 0x2de8, -v193
	s_delay_alu instid0(VALU_DEP_3) | instskip(NEXT) | instid1(VALU_DEP_2)
	v_add_f16_e64 v82, v198, v82
	v_add_f16_e32 v81, v83, v81
	v_fma_f16 v83, v48, 0x2de8, -v179
	v_fma_f16 v48, v48, 0x39e9, -v170
	s_delay_alu instid0(VALU_DEP_4) | instskip(SKIP_1) | instid1(VALU_DEP_4)
	v_add_f16_e64 v58, v187, v82
	v_add_f16_e64 v82, v166, v190
	v_add_f16_e32 v59, v83, v59
	s_delay_alu instid0(VALU_DEP_4)
	v_add_f16_e32 v48, v48, v51
	v_fma_f16 v51, v28, 0xbbdd, -v174
	v_fma_f16 v28, v28, 0x2de8, -v172
	v_add_f16_e64 v82, v181, v82
	v_add_f16_e32 v57, v57, v59
	v_add_f16_e32 v48, v50, v48
	v_fma_f16 v50, v54, 0xbacd, -v177
	s_delay_alu instid0(VALU_DEP_4) | instskip(NEXT) | instid1(VALU_DEP_4)
	v_add_f16_e64 v59, v183, v82
	v_add_f16_e32 v51, v51, v57
	s_delay_alu instid0(VALU_DEP_4) | instskip(SKIP_1) | instid1(VALU_DEP_4)
	v_add_f16_e32 v28, v28, v48
	v_fma_f16 v48, v54, 0xb461, -v167
	v_add_f16_e64 v53, v182, v59
	s_delay_alu instid0(VALU_DEP_4) | instskip(NEXT) | instid1(VALU_DEP_3)
	v_add_f16_e32 v50, v50, v51
	v_add_f16_e32 v28, v48, v28
	v_fma_f16 v48, v26, 0x3722, -v175
	v_fma_f16 v26, v26, 0xbacd, -v118
	v_add_f16_e64 v51, v180, v53
	v_fma_f16 v53, v52, 0xb461, -v176
	v_add_f16_e32 v28, v29, v28
	v_fma_f16 v29, v27, 0xbacd, -v68
	v_fma_f16 v27, v27, 0xbbdd, -v120
	v_add_f16_e64 v51, v171, v51
	v_add_f16_e32 v50, v53, v50
	v_add_f16_e32 v26, v26, v28
	v_pack_b32_f16 v52, v67, v66
	v_pack_b32_f16 v53, v112, v69
	v_add_f16_e32 v29, v29, v81
	v_add_f16_e32 v48, v48, v50
	v_add_f16_e64 v50, v169, v51
	v_add_f16_e32 v26, v27, v26
	v_add_f16_e64 v51, v128, v58
	v_pack_b32_f16 v29, v29, v80
	v_add_f16_e32 v45, v45, v48
	v_add_f16_e32 v48, v121, v50
	v_pack_b32_f16 v50, v117, v85
	v_lshrrev_b32_e32 v117, 16, v15
	s_delay_alu instid0(VALU_DEP_4) | instskip(NEXT) | instid1(VALU_DEP_4)
	v_pack_b32_f16 v45, v45, v51
	v_pack_b32_f16 v26, v26, v48
	s_wait_loadcnt 0x0
	v_lshl_add_u32 v28, v24, 2, v25
	s_clause 0x2
	scratch_load_b32 v24, off, off offset:96 th:TH_LOAD_LU
	scratch_load_b32 v25, off, off offset:132 th:TH_LOAD_LU
	;; [unrolled: 1-line block ×3, first 2 shown]
	s_wait_loadcnt 0x2
	v_pack_b32_f16 v24, v24, v113
	s_wait_loadcnt 0x0
	v_pack_b32_f16 v54, v44, v25
	s_clause 0x1
	scratch_load_b32 v25, off, off offset:108 th:TH_LOAD_LU
	scratch_load_b32 v44, off, off offset:112 th:TH_LOAD_LU
	v_lshrrev_b32_e32 v113, 16, v31
	s_wait_loadcnt 0x0
	v_pack_b32_f16 v46, v44, v25
	s_clause 0x1
	scratch_load_b32 v25, off, off offset:124 th:TH_LOAD_LU
	scratch_load_b32 v44, off, off offset:128 th:TH_LOAD_LU
	s_wait_loadcnt 0x0
	v_pack_b32_f16 v49, v44, v25
	ds_store_2addr_b32 v28, v24, v50 offset1:1
	ds_store_2addr_b32 v28, v53, v52 offset0:2 offset1:3
	ds_store_2addr_b32 v28, v55, v54 offset0:4 offset1:5
	;; [unrolled: 1-line block ×3, first 2 shown]
	s_clause 0x1
	scratch_load_b32 v25, off, off offset:100 th:TH_LOAD_LU
	scratch_load_b32 v27, off, off offset:104 th:TH_LOAD_LU
	v_pack_b32_f16 v24, v71, v114
	v_lshrrev_b32_e32 v114, 16, v17
	v_pack_b32_f16 v44, v74, v73
	v_pack_b32_f16 v46, v79, v78
	;; [unrolled: 1-line block ×3, first 2 shown]
	s_wait_loadcnt 0x0
	v_pack_b32_f16 v25, v27, v25
	v_pack_b32_f16 v27, v75, v72
	ds_store_2addr_b32 v28, v25, v24 offset0:8 offset1:9
	ds_store_2addr_b32 v28, v44, v27 offset0:10 offset1:11
	;; [unrolled: 1-line block ×4, first 2 shown]
	ds_store_b32 v28, v26 offset:64
.LBB0_13:
	s_wait_alu 0xfffe
	s_or_b32 exec_lo, exec_lo, s0
	global_wb scope:SCOPE_SE
	s_wait_storecnt_dscnt 0x0
	s_barrier_signal -1
	s_barrier_wait -1
	global_inv scope:SCOPE_SE
	ds_load_2addr_b32 v[25:26], v70 offset1:17
	ds_load_2addr_b32 v[27:28], v70 offset0:136 offset1:153
	v_add_nc_u32_e32 v24, 0x400, v70
	ds_load_2addr_b32 v[44:45], v70 offset0:34 offset1:51
	ds_load_2addr_b32 v[48:49], v70 offset0:170 offset1:187
	;; [unrolled: 1-line block ×10, first 2 shown]
	global_wb scope:SCOPE_SE
	s_wait_dscnt 0x0
	s_barrier_signal -1
	s_barrier_wait -1
	global_inv scope:SCOPE_SE
	s_mov_b32 s8, 0x14141414
	s_mov_b32 s9, 0x3f641414
	v_lshrrev_b32_e32 v68, 16, v44
	v_lshrrev_b32_e32 v69, 16, v48
	;; [unrolled: 1-line block ×7, first 2 shown]
	v_mul_f16_e32 v89, v116, v27
	v_mul_f16_e32 v91, v113, v71
	v_lshrrev_b32_e32 v75, 16, v49
	v_mul_f16_e32 v87, v116, v46
	v_lshrrev_b32_e32 v76, 16, v53
	v_fma_f16 v46, v30, v46, -v89
	v_mul_f16_e32 v89, v116, v67
	v_fmac_f16_e32 v91, v31, v50
	v_fmac_f16_e32 v87, v30, v27
	v_mul_f16_e32 v27, v113, v50
	v_mul_f16_e32 v50, v116, v28
	v_fmac_f16_e32 v89, v30, v28
	v_mul_f16_e32 v28, v113, v51
	v_lshrrev_b32_e32 v78, 16, v56
	v_fma_f16 v27, v31, v71, -v27
	v_mul_f16_e32 v71, v113, v72
	v_fma_f16 v30, v30, v67, -v50
	v_mul_f16_e64 v50, v161, v69
	v_fma_f16 v28, v31, v72, -v28
	v_lshrrev_b32_e32 v79, 16, v58
	v_fmac_f16_e32 v71, v31, v51
	v_mul_f16_e64 v51, v161, v48
	v_mul_f16_e64 v31, v142, v73
	v_fmac_f16_e32 v50, v42, v48
	v_mul_f16_e64 v48, v142, v52
	v_lshrrev_b32_e32 v81, 16, v57
	v_fma_f16 v42, v42, v69, -v51
	v_mul_f16_e64 v51, v141, v75
	v_fmac_f16_e32 v31, v43, v52
	v_mul_f16_e64 v52, v141, v49
	v_fma_f16 v43, v43, v73, -v48
	v_mul_f16_e64 v48, v140, v76
	v_fmac_f16_e32 v51, v40, v49
	v_mul_f16_e64 v49, v140, v53
	v_fma_f16 v40, v40, v75, -v52
	v_mul_f16_e64 v52, v162, v78
	v_lshrrev_b32_e32 v82, 16, v59
	v_fmac_f16_e32 v48, v41, v53
	v_mul_f16_e64 v53, v162, v56
	v_fma_f16 v41, v41, v76, -v49
	v_mul_f16_e64 v49, v136, v79
	v_fmac_f16_e32 v52, v38, v56
	v_mul_f16_e64 v56, v136, v58
	v_lshrrev_b32_e32 v84, 16, v62
	v_fma_f16 v38, v38, v78, -v53
	v_mul_f16_e64 v53, v135, v81
	v_fmac_f16_e32 v49, v39, v58
	v_mul_f16_e64 v58, v135, v57
	v_fma_f16 v39, v39, v79, -v56
	v_mul_f16_e64 v56, v133, v82
	v_lshrrev_b32_e32 v85, 16, v64
	v_lshrrev_b32_e32 v88, 16, v63
	v_fmac_f16_e32 v53, v36, v57
	v_mul_f16_e64 v57, v133, v59
	v_fma_f16 v36, v36, v81, -v58
	v_mul_f16_e64 v58, v131, v84
	v_fmac_f16_e32 v56, v37, v59
	v_mul_f16_e64 v59, v131, v62
	v_lshrrev_b32_e32 v90, 16, v65
	v_fma_f16 v37, v37, v82, -v57
	v_mul_f16_e64 v57, v130, v85
	v_fmac_f16_e32 v58, v34, v62
	v_mul_f16_e64 v62, v130, v64
	v_fma_f16 v34, v34, v84, -v59
	v_mul_f16_e64 v59, v129, v88
	v_fmac_f16_e32 v57, v35, v64
	v_mul_f16_e64 v64, v129, v63
	v_fma_f16 v35, v35, v85, -v62
	v_mul_f16_e32 v62, v127, v90
	v_fmac_f16_e32 v59, v32, v63
	v_mul_f16_e32 v63, v127, v65
	v_lshrrev_b32_e32 v29, 16, v25
	v_fma_f16 v32, v32, v88, -v64
	v_add_f16_e32 v64, v87, v91
	v_fmac_f16_e32 v62, v33, v65
	v_fma_f16 v33, v33, v90, -v63
	v_add_f16_e32 v63, v46, v27
	v_add_f16_e32 v65, v25, v87
	v_fma_f16 v25, -0.5, v64, v25
	v_sub_f16_e32 v64, v46, v27
	v_add_f16_e32 v46, v29, v46
	v_fmac_f16_e32 v29, -0.5, v63
	v_sub_f16_e32 v63, v87, v91
	v_lshrrev_b32_e32 v66, 16, v26
	v_fmamk_f16 v67, v64, 0xbaee, v25
	v_fmac_f16_e32 v25, 0x3aee, v64
	v_add_f16_e32 v27, v46, v27
	v_add_f16_e32 v46, v89, v71
	v_fmamk_f16 v64, v63, 0x3aee, v29
	v_fmac_f16_e32 v29, 0xbaee, v63
	v_add_f16_e32 v63, v30, v28
	v_add_f16_e32 v69, v26, v89
	v_fmac_f16_e32 v26, -0.5, v46
	v_sub_f16_e32 v46, v30, v28
	v_add_f16_e32 v30, v66, v30
	v_fmac_f16_e32 v66, -0.5, v63
	v_sub_f16_e32 v63, v89, v71
	v_add_f16_e32 v69, v69, v71
	v_fmamk_f16 v71, v46, 0xbaee, v26
	v_fmac_f16_e32 v26, 0x3aee, v46
	v_add_f16_e32 v28, v30, v28
	v_add_f16_e32 v30, v50, v31
	v_fmamk_f16 v46, v63, 0x3aee, v66
	v_add_f16_e32 v72, v44, v50
	v_fmac_f16_e32 v66, 0xbaee, v63
	v_add_f16_e32 v63, v42, v43
	v_fma_f16 v30, -0.5, v30, v44
	v_sub_f16_e32 v44, v42, v43
	v_add_f16_e32 v72, v72, v31
	v_add_f16_e32 v42, v68, v42
	v_fmac_f16_e32 v68, -0.5, v63
	v_sub_f16_e32 v31, v50, v31
	v_lshrrev_b32_e32 v74, 16, v45
	v_fmamk_f16 v50, v44, 0xbaee, v30
	v_fmac_f16_e32 v30, 0x3aee, v44
	v_add_f16_e32 v42, v42, v43
	v_add_f16_e32 v43, v51, v48
	v_fmamk_f16 v44, v31, 0x3aee, v68
	v_fmac_f16_e32 v68, 0xbaee, v31
	v_add_f16_e32 v31, v40, v41
	v_add_f16_e32 v63, v45, v51
	v_fmac_f16_e32 v45, -0.5, v43
	v_sub_f16_e32 v43, v40, v41
	v_add_f16_e32 v40, v74, v40
	v_fmac_f16_e32 v74, -0.5, v31
	v_sub_f16_e32 v31, v51, v48
	v_lshrrev_b32_e32 v77, 16, v54
	v_add_f16_e32 v63, v63, v48
	v_fmamk_f16 v48, v43, 0xbaee, v45
	v_fmac_f16_e32 v45, 0x3aee, v43
	v_add_f16_e32 v40, v40, v41
	v_add_f16_e32 v41, v52, v49
	v_fmamk_f16 v43, v31, 0x3aee, v74
	v_fmac_f16_e32 v74, 0xbaee, v31
	v_add_f16_e32 v31, v38, v39
	v_add_f16_e32 v51, v54, v52
	v_fma_f16 v41, -0.5, v41, v54
	v_sub_f16_e32 v54, v38, v39
	v_add_f16_e32 v38, v77, v38
	v_fmac_f16_e32 v77, -0.5, v31
	v_sub_f16_e32 v31, v52, v49
	v_lshrrev_b32_e32 v80, 16, v55
	v_add_f16_e32 v51, v51, v49
	v_add_f16_e32 v38, v38, v39
	;; [unrolled: 1-line block ×3, first 2 shown]
	v_fmamk_f16 v52, v31, 0x3aee, v77
	v_fmac_f16_e32 v77, 0xbaee, v31
	v_add_f16_e32 v31, v36, v37
	v_fmamk_f16 v49, v54, 0xbaee, v41
	v_fmac_f16_e32 v41, 0x3aee, v54
	v_add_f16_e32 v54, v55, v53
	v_fmac_f16_e32 v55, -0.5, v39
	v_sub_f16_e32 v39, v36, v37
	v_add_f16_e32 v36, v80, v36
	v_fmac_f16_e32 v80, -0.5, v31
	v_sub_f16_e32 v31, v53, v56
	v_lshrrev_b32_e32 v83, 16, v60
	v_fmamk_f16 v53, v39, 0xbaee, v55
	v_fmac_f16_e32 v55, 0x3aee, v39
	v_add_f16_e32 v36, v36, v37
	v_add_f16_e32 v37, v58, v57
	v_fmamk_f16 v39, v31, 0x3aee, v80
	v_fmac_f16_e32 v80, 0xbaee, v31
	v_add_f16_e32 v31, v34, v35
	v_add_f16_e32 v54, v54, v56
	;; [unrolled: 1-line block ×3, first 2 shown]
	v_fma_f16 v37, -0.5, v37, v60
	v_sub_f16_e32 v60, v34, v35
	v_add_f16_e32 v34, v83, v34
	v_fmac_f16_e32 v83, -0.5, v31
	v_sub_f16_e32 v31, v58, v57
	v_lshrrev_b32_e32 v86, 16, v61
	v_add_f16_e32 v65, v65, v91
	v_add_f16_e32 v34, v34, v35
	;; [unrolled: 1-line block ×3, first 2 shown]
	v_fmamk_f16 v58, v31, 0x3aee, v83
	v_fmac_f16_e32 v83, 0xbaee, v31
	v_add_f16_e32 v31, v32, v33
	v_add_f16_e32 v56, v56, v57
	v_fmamk_f16 v57, v60, 0xbaee, v37
	v_fmac_f16_e32 v37, 0x3aee, v60
	v_add_f16_e32 v60, v61, v59
	v_fmac_f16_e32 v61, -0.5, v35
	v_sub_f16_e32 v35, v32, v33
	v_add_f16_e32 v32, v86, v32
	v_fmac_f16_e32 v86, -0.5, v31
	v_sub_f16_e32 v31, v59, v62
	v_pack_b32_f16 v27, v65, v27
	v_pack_b32_f16 v25, v25, v29
	v_add_f16_e32 v32, v32, v33
	v_pack_b32_f16 v28, v69, v28
	v_fmamk_f16 v33, v31, 0x3aee, v86
	v_fmac_f16_e32 v86, 0xbaee, v31
	v_pack_b32_f16 v31, v67, v64
	v_pack_b32_f16 v29, v71, v46
	;; [unrolled: 1-line block ×3, first 2 shown]
	ds_store_2addr_b32 v70, v27, v31 offset1:17
	ds_store_2addr_b32 v70, v25, v28 offset0:34 offset1:51
	ds_store_2addr_b32 v70, v29, v26 offset0:68 offset1:85
	v_pack_b32_f16 v25, v72, v42
	v_pack_b32_f16 v26, v50, v44
	;; [unrolled: 1-line block ×6, first 2 shown]
	v_add_f16_e32 v59, v60, v62
	v_fmamk_f16 v60, v35, 0xbaee, v61
	ds_store_2addr_b32 v124, v25, v26 offset0:102 offset1:119
	v_pack_b32_f16 v25, v30, v68
	ds_store_2addr_b32 v125, v27, v28 offset0:153 offset1:170
	ds_store_2addr_b32 v126, v29, v31 offset0:204 offset1:221
	v_pack_b32_f16 v28, v54, v36
	v_pack_b32_f16 v29, v53, v39
	v_add_nc_u32_e32 v30, 0x200, v111
	v_fmac_f16_e32 v61, 0x3aee, v35
	v_pack_b32_f16 v31, v56, v34
	v_pack_b32_f16 v34, v57, v58
	v_add_nc_u32_e32 v35, 0x400, v122
	v_pack_b32_f16 v32, v59, v32
	v_pack_b32_f16 v33, v60, v33
	v_add_nc_u32_e32 v36, 0x400, v123
	v_pack_b32_f16 v26, v45, v74
	v_pack_b32_f16 v27, v41, v77
	ds_store_2addr_b32 v30, v28, v29 offset0:127 offset1:144
	v_pack_b32_f16 v28, v55, v80
	v_pack_b32_f16 v29, v37, v83
	;; [unrolled: 1-line block ×3, first 2 shown]
	ds_store_2addr_b32 v35, v31, v34 offset0:50 offset1:67
	ds_store_2addr_b32 v36, v32, v33 offset0:101 offset1:118
	ds_store_b32 v124, v25 offset:544
	ds_store_b32 v125, v26 offset:748
	;; [unrolled: 1-line block ×6, first 2 shown]
	global_wb scope:SCOPE_SE
	s_wait_dscnt 0x0
	s_barrier_signal -1
	s_barrier_wait -1
	global_inv scope:SCOPE_SE
	ds_load_2addr_b32 v[25:26], v70 offset1:17
	ds_load_2addr_b32 v[27:28], v70 offset0:34 offset1:51
	ds_load_2addr_b32 v[29:30], v70 offset0:102 offset1:119
	;; [unrolled: 1-line block ×11, first 2 shown]
	s_wait_dscnt 0xb
	v_lshrrev_b32_e32 v50, 16, v25
	s_wait_dscnt 0xa
	v_lshrrev_b32_e32 v51, 16, v28
	;; [unrolled: 2-line block ×4, first 2 shown]
	v_mul_f16_e64 v75, v158, v28
	s_wait_dscnt 0x7
	v_lshrrev_b32_e32 v54, 16, v33
	v_mul_f16_e64 v72, v158, v51
	s_wait_dscnt 0x6
	v_lshrrev_b32_e32 v55, 16, v36
	s_wait_dscnt 0x5
	v_lshrrev_b32_e32 v56, 16, v37
	v_mul_f16_e64 v77, v154, v29
	s_wait_dscnt 0x4
	v_lshrrev_b32_e32 v57, 16, v40
	v_fmac_f16_e32 v72, v8, v28
	v_mul_f16_e64 v28, v154, v52
	v_fma_f16 v8, v8, v51, -v75
	v_mul_f16_e64 v51, v153, v53
	v_mul_f16_e64 v75, v153, v32
	s_wait_dscnt 0x3
	v_lshrrev_b32_e32 v59, 16, v41
	v_fmac_f16_e32 v28, v9, v29
	v_mul_f16_e64 v29, v152, v54
	v_fmac_f16_e32 v51, v10, v32
	v_mul_f16_e64 v32, v152, v33
	v_fma_f16 v9, v9, v52, -v77
	v_fma_f16 v10, v10, v53, -v75
	v_mul_f16_e64 v52, v150, v55
	v_fmac_f16_e32 v29, v11, v33
	v_mul_f16_e64 v33, v150, v36
	v_mul_f16_e64 v53, v149, v56
	v_fma_f16 v11, v11, v54, -v32
	v_mul_f16_e64 v32, v149, v37
	v_lshrrev_b32_e32 v60, 16, v30
	v_fmac_f16_e32 v52, v18, v36
	v_fma_f16 v18, v18, v55, -v33
	v_fmac_f16_e32 v53, v19, v37
	v_mul_f16_e64 v33, v148, v57
	v_mul_f16_e64 v36, v148, v40
	v_fma_f16 v19, v19, v56, -v32
	v_mul_f16_e32 v32, v100, v59
	v_mul_f16_e32 v37, v100, v41
	s_wait_dscnt 0x2
	v_lshrrev_b32_e32 v61, 16, v43
	v_lshrrev_b32_e32 v62, 16, v34
	v_fmac_f16_e32 v33, v20, v40
	v_fma_f16 v20, v20, v57, -v36
	v_mul_f16_e64 v36, v134, v60
	v_fmac_f16_e32 v32, v4, v41
	v_fma_f16 v4, v4, v59, -v37
	v_mul_f16_e64 v37, v134, v30
	s_wait_dscnt 0x1
	v_lshrrev_b32_e32 v63, 16, v45
	v_lshrrev_b32_e32 v64, 16, v38
	v_mul_f16_e64 v40, v160, v61
	v_fmac_f16_e32 v36, v5, v30
	v_mul_f16_e64 v30, v160, v43
	v_mul_f16_e64 v41, v159, v62
	v_fma_f16 v5, v5, v60, -v37
	v_mul_f16_e64 v37, v159, v34
	s_wait_dscnt 0x0
	v_lshrrev_b32_e32 v65, 16, v48
	v_fmac_f16_e32 v40, v6, v43
	v_fma_f16 v6, v6, v61, -v30
	v_fmac_f16_e32 v41, v7, v34
	v_mul_f16_e32 v30, v117, v63
	v_mul_f16_e32 v34, v117, v45
	v_fma_f16 v7, v7, v62, -v37
	v_mul_f16_e32 v37, v115, v64
	v_lshrrev_b32_e32 v67, 16, v42
	v_lshrrev_b32_e32 v68, 16, v31
	v_mul_f16_e32 v43, v115, v38
	v_fmac_f16_e32 v30, v15, v45
	v_fma_f16 v15, v15, v63, -v34
	v_mul_f16_e32 v34, v114, v65
	v_fmac_f16_e32 v37, v16, v38
	v_mul_f16_e32 v38, v114, v48
	v_lshrrev_b32_e32 v69, 16, v44
	v_lshrrev_b32_e32 v71, 16, v35
	v_fma_f16 v16, v16, v64, -v43
	v_mul_f16_e64 v43, v147, v67
	v_fmac_f16_e32 v34, v17, v48
	v_mul_f16_e64 v48, v146, v68
	v_fma_f16 v17, v17, v65, -v38
	v_mul_f16_e64 v38, v146, v31
	v_lshrrev_b32_e32 v73, 16, v46
	v_lshrrev_b32_e32 v74, 16, v39
	v_mul_f16_e64 v45, v147, v42
	v_fmac_f16_e32 v43, v0, v42
	v_fmac_f16_e32 v48, v1, v31
	v_mul_f16_e32 v31, v110, v69
	v_mul_f16_e32 v42, v110, v44
	v_fma_f16 v1, v1, v68, -v38
	v_mul_f16_e64 v38, v145, v71
	v_fma_f16 v0, v0, v67, -v45
	v_mul_f16_e64 v45, v145, v35
	v_fmac_f16_e32 v31, v2, v44
	v_fma_f16 v2, v2, v69, -v42
	v_mul_f16_e64 v42, v163, v73
	v_fmac_f16_e32 v38, v3, v35
	v_mul_f16_e64 v35, v163, v46
	v_mul_f16_e64 v44, v138, v74
	v_fma_f16 v3, v3, v71, -v45
	v_fmac_f16_e32 v42, v12, v46
	v_mul_f16_e64 v45, v138, v39
	v_fma_f16 v12, v12, v73, -v35
	v_fmac_f16_e32 v44, v13, v39
	v_sub_f16_e32 v29, v25, v29
	v_sub_f16_e32 v11, v50, v11
	;; [unrolled: 1-line block ×8, first 2 shown]
	v_fma_f16 v13, v13, v74, -v45
	v_fma_f16 v25, v25, 2.0, -v29
	v_fma_f16 v45, v50, 2.0, -v11
	;; [unrolled: 1-line block ×8, first 2 shown]
	v_lshrrev_b32_e32 v76, 16, v49
	v_sub_f16_e32 v28, v25, v28
	v_sub_f16_e32 v9, v45, v9
	v_add_f16_e32 v19, v29, v19
	v_add_f16_e32 v20, v39, v20
	v_sub_f16_e32 v51, v50, v51
	v_sub_f16_e32 v10, v8, v10
	v_mul_f16_e64 v46, v137, v76
	v_fma_f16 v25, v25, 2.0, -v28
	v_fma_f16 v45, v45, 2.0, -v9
	v_sub_f16_e32 v35, v11, v35
	v_fma_f16 v29, v29, 2.0, -v19
	v_sub_f16_e32 v33, v18, v33
	v_fma_f16 v39, v39, 2.0, -v20
	v_fma_f16 v50, v50, 2.0, -v51
	;; [unrolled: 1-line block ×3, first 2 shown]
	v_lshrrev_b32_e32 v58, 16, v26
	v_fmac_f16_e32 v46, v14, v49
	v_fma_f16 v11, v11, 2.0, -v35
	v_fma_f16 v18, v18, 2.0, -v33
	v_fmamk_f16 v52, v39, 0xb9a8, v29
	v_mul_f16_e64 v49, v137, v49
	v_sub_f16_e32 v50, v25, v50
	v_sub_f16_e32 v8, v45, v8
	v_fmamk_f16 v53, v18, 0xb9a8, v11
	v_fmac_f16_e32 v52, 0x39a8, v18
	v_fma_f16 v14, v14, v76, -v49
	v_fma_f16 v18, v25, 2.0, -v50
	v_fma_f16 v25, v45, 2.0, -v8
	v_fmamk_f16 v45, v20, 0x39a8, v19
	v_fmamk_f16 v49, v33, 0x39a8, v35
	v_sub_f16_e32 v41, v26, v41
	v_sub_f16_e32 v7, v58, v7
	;; [unrolled: 1-line block ×6, first 2 shown]
	v_fmac_f16_e32 v45, 0x39a8, v33
	v_fmac_f16_e32 v49, 0xb9a8, v20
	v_sub_f16_e32 v20, v36, v37
	v_fma_f16 v33, v58, 2.0, -v7
	v_fma_f16 v5, v5, 2.0, -v16
	v_sub_f16_e32 v34, v40, v34
	v_fma_f16 v4, v4, 2.0, -v15
	v_fma_f16 v6, v6, 2.0, -v17
	v_add_f16_e32 v16, v41, v16
	v_add_f16_e32 v17, v30, v17
	v_fma_f16 v36, v36, 2.0, -v20
	v_fma_f16 v32, v32, 2.0, -v30
	v_sub_f16_e32 v5, v33, v5
	v_fma_f16 v37, v40, 2.0, -v34
	v_sub_f16_e32 v20, v7, v20
	;; [unrolled: 2-line block ×3, first 2 shown]
	v_sub_f16_e32 v6, v4, v6
	v_fma_f16 v30, v30, 2.0, -v17
	v_fma_f16 v26, v26, 2.0, -v41
	;; [unrolled: 1-line block ×6, first 2 shown]
	v_fmamk_f16 v41, v30, 0xb9a8, v40
	v_fmac_f16_e32 v53, 0xb9a8, v39
	v_sub_f16_e32 v39, v9, v51
	v_sub_f16_e32 v37, v32, v37
	v_fmamk_f16 v51, v15, 0xb9a8, v7
	v_sub_f16_e32 v4, v33, v4
	v_fmac_f16_e32 v41, 0x39a8, v15
	v_lshrrev_b32_e32 v66, 16, v27
	v_fma_f16 v32, v32, 2.0, -v37
	v_fma_f16 v15, v35, 2.0, -v49
	v_fmac_f16_e32 v51, 0xb9a8, v30
	v_fma_f16 v30, v33, 2.0, -v4
	v_fma_f16 v33, v40, 2.0, -v41
	v_sub_f16_e32 v35, v5, v37
	v_fmamk_f16 v37, v17, 0x39a8, v16
	v_fmamk_f16 v40, v34, 0x39a8, v20
	v_sub_f16_e32 v38, v27, v38
	v_sub_f16_e32 v3, v66, v3
	;; [unrolled: 1-line block ×3, first 2 shown]
	v_fmac_f16_e32 v37, 0x39a8, v34
	v_fmac_f16_e32 v40, 0xb9a8, v17
	v_fma_f16 v17, v27, 2.0, -v38
	v_sub_f16_e32 v27, v48, v44
	v_sub_f16_e32 v34, v43, v42
	;; [unrolled: 1-line block ×5, first 2 shown]
	v_fma_f16 v42, v66, 2.0, -v3
	v_fma_f16 v44, v48, 2.0, -v27
	;; [unrolled: 1-line block ×7, first 2 shown]
	v_sub_f16_e32 v44, v17, v44
	v_sub_f16_e32 v1, v42, v1
	v_add_f16_e32 v13, v38, v13
	v_add_f16_e32 v14, v34, v14
	v_sub_f16_e32 v31, v43, v31
	v_sub_f16_e32 v2, v0, v2
	;; [unrolled: 1-line block ×4, first 2 shown]
	v_fma_f16 v17, v17, 2.0, -v44
	v_fma_f16 v42, v42, 2.0, -v1
	;; [unrolled: 1-line block ×6, first 2 shown]
	v_sub_f16_e32 v36, v26, v36
	v_fma_f16 v3, v3, 2.0, -v27
	v_fma_f16 v12, v12, 2.0, -v46
	v_add_f16_e32 v10, v28, v10
	v_fmamk_f16 v48, v34, 0xb9a8, v38
	v_sub_f16_e32 v43, v17, v43
	v_sub_f16_e32 v0, v42, v0
	v_fma_f16 v26, v26, 2.0, -v36
	v_fmamk_f16 v54, v12, 0xb9a8, v3
	v_fma_f16 v28, v28, 2.0, -v10
	v_fma_f16 v9, v9, 2.0, -v39
	;; [unrolled: 1-line block ×3, first 2 shown]
	v_fmac_f16_e32 v48, 0x39a8, v12
	v_fma_f16 v12, v17, 2.0, -v43
	v_fma_f16 v17, v42, 2.0, -v0
	v_fmamk_f16 v42, v46, 0x39a8, v27
	v_sub_f16_e32 v32, v26, v32
	v_add_f16_e32 v6, v36, v6
	v_fmac_f16_e32 v54, 0xb9a8, v34
	v_fmamk_f16 v34, v14, 0x39a8, v13
	v_fmac_f16_e32 v42, 0xb9a8, v14
	v_pack_b32_f16 v9, v28, v9
	v_pack_b32_f16 v14, v19, v15
	v_fma_f16 v26, v26, 2.0, -v32
	v_add_f16_e32 v2, v44, v2
	v_sub_f16_e32 v31, v1, v31
	v_pack_b32_f16 v8, v50, v8
	v_pack_b32_f16 v15, v52, v53
	v_fma_f16 v7, v7, 2.0, -v51
	v_fma_f16 v36, v36, 2.0, -v6
	;; [unrolled: 1-line block ×3, first 2 shown]
	v_fmac_f16_e32 v34, 0x39a8, v46
	v_fma_f16 v16, v16, 2.0, -v37
	v_fma_f16 v20, v20, 2.0, -v40
	v_fma_f16 v29, v29, 2.0, -v52
	v_fma_f16 v11, v11, 2.0, -v53
	ds_store_2addr_b32 v70, v9, v14 offset0:102 offset1:153
	ds_store_2addr_b32 v70, v8, v15 offset0:204 offset1:255
	v_pack_b32_f16 v8, v10, v39
	v_pack_b32_f16 v9, v45, v49
	v_fma_f16 v38, v38, 2.0, -v48
	v_fma_f16 v3, v3, 2.0, -v54
	;; [unrolled: 1-line block ×4, first 2 shown]
	v_pack_b32_f16 v18, v18, v25
	v_pack_b32_f16 v10, v26, v30
	v_fma_f16 v13, v13, 2.0, -v34
	v_fma_f16 v19, v27, 2.0, -v42
	v_pack_b32_f16 v7, v33, v7
	v_pack_b32_f16 v5, v36, v5
	;; [unrolled: 1-line block ×6, first 2 shown]
	v_add_nc_u32_e32 v16, 0x200, v47
	v_pack_b32_f16 v11, v29, v11
	ds_store_2addr_b32 v24, v8, v9 offset0:50 offset1:101
	ds_store_2addr_b32 v70, v18, v10 offset1:17
	ds_store_2addr_b32 v47, v7, v5 offset0:51 offset1:102
	ds_store_2addr_b32 v47, v14, v4 offset0:153 offset1:204
	;; [unrolled: 1-line block ×3, first 2 shown]
	v_pack_b32_f16 v5, v12, v17
	v_pack_b32_f16 v3, v38, v3
	v_pack_b32_f16 v1, v44, v1
	v_pack_b32_f16 v6, v13, v19
	v_pack_b32_f16 v0, v43, v0
	v_pack_b32_f16 v7, v48, v54
	v_pack_b32_f16 v2, v2, v31
	v_add_nc_u32_e32 v8, 0x200, v157
	v_pack_b32_f16 v4, v37, v40
	ds_store_2addr_b32 v70, v5, v11 offset0:34 offset1:51
	v_pack_b32_f16 v5, v34, v42
	ds_store_2addr_b32 v157, v3, v1 offset0:51 offset1:102
	ds_store_2addr_b32 v157, v6, v0 offset0:153 offset1:204
	;; [unrolled: 1-line block ×3, first 2 shown]
	ds_store_b32 v47, v4 offset:1428
	ds_store_b32 v157, v5 offset:1428
	global_wb scope:SCOPE_SE
	s_wait_dscnt 0x0
	s_barrier_signal -1
	s_barrier_wait -1
	global_inv scope:SCOPE_SE
	ds_load_2addr_b32 v[0:1], v70 offset1:24
	v_lshrrev_b32_e32 v5, 16, v107
	v_lshrrev_b32_e32 v14, 16, v106
	;; [unrolled: 1-line block ×3, first 2 shown]
	s_wait_dscnt 0x0
	v_lshrrev_b32_e32 v4, 16, v0
	s_delay_alu instid0(VALU_DEP_1) | instskip(NEXT) | instid1(VALU_DEP_1)
	v_mul_f16_e32 v2, v5, v4
	v_fmac_f16_e32 v2, v107, v0
	v_mul_f16_e32 v0, v5, v0
	s_delay_alu instid0(VALU_DEP_2) | instskip(NEXT) | instid1(VALU_DEP_2)
	v_cvt_f32_f16_e32 v2, v2
	v_fma_f16 v0, v107, v4, -v0
	s_delay_alu instid0(VALU_DEP_2) | instskip(NEXT) | instid1(VALU_DEP_2)
	v_cvt_f64_f32_e32 v[2:3], v2
	v_cvt_f32_f16_e32 v0, v0
	s_delay_alu instid0(VALU_DEP_1) | instskip(SKIP_1) | instid1(VALU_DEP_1)
	v_cvt_f64_f32_e32 v[4:5], v0
	v_lshrrev_b32_e32 v0, 16, v1
	v_mul_f16_e32 v6, v14, v0
	s_delay_alu instid0(VALU_DEP_1) | instskip(SKIP_1) | instid1(VALU_DEP_2)
	v_fmac_f16_e32 v6, v106, v1
	v_mul_f16_e32 v1, v14, v1
	v_cvt_f32_f16_e32 v6, v6
	s_delay_alu instid0(VALU_DEP_2) | instskip(SKIP_3) | instid1(VALU_DEP_2)
	v_fma_f16 v0, v106, v0, -v1
	s_wait_alu 0xfffe
	v_mul_f64_e32 v[2:3], s[8:9], v[2:3]
	v_mul_f64_e32 v[4:5], s[8:9], v[4:5]
	v_and_or_b32 v2, 0x1ff, v3, v2
	v_lshrrev_b32_e32 v7, 8, v3
	v_bfe_u32 v8, v3, 20, 11
	v_lshrrev_b32_e32 v19, 16, v3
	s_delay_alu instid0(VALU_DEP_4)
	v_cmp_ne_u32_e64 s0, 0, v2
	v_and_or_b32 v4, 0x1ff, v5, v4
	v_lshrrev_b32_e32 v11, 8, v5
	v_bfe_u32 v13, v5, 20, 11
	v_add_nc_u32_e32 v14, 0xfffffc10, v8
	s_wait_alu 0xf1ff
	v_cndmask_b32_e64 v2, 0, 1, s0
	v_cmp_ne_u32_e64 s0, 0, v4
	v_lshrrev_b32_e32 v5, 16, v5
	v_add_nc_u32_e32 v18, 0xfffffc10, v13
	s_delay_alu instid0(VALU_DEP_4)
	v_and_or_b32 v12, 0xffe, v7, v2
	v_sub_nc_u32_e32 v2, 0x3f1, v8
	v_cvt_f64_f32_e32 v[6:7], v6
	s_wait_alu 0xf1ff
	v_cndmask_b32_e64 v4, 0, 1, s0
	v_cvt_f32_f16_e32 v8, v0
	v_or_b32_e32 v9, 0x1000, v12
	v_med3_i32 v2, v2, 0, 13
	v_lshl_or_b32 v1, v14, 12, v12
	v_and_or_b32 v15, 0xffe, v11, v4
	v_sub_nc_u32_e32 v4, 0x3f1, v13
	s_delay_alu instid0(VALU_DEP_4) | instskip(NEXT) | instid1(VALU_DEP_3)
	v_lshrrev_b32_e32 v10, v2, v9
	v_lshl_or_b32 v13, v18, 12, v15
	s_delay_alu instid0(VALU_DEP_3) | instskip(NEXT) | instid1(VALU_DEP_3)
	v_med3_i32 v4, v4, 0, 13
	v_lshlrev_b32_e32 v2, v2, v10
	s_delay_alu instid0(VALU_DEP_1) | instskip(SKIP_1) | instid1(VALU_DEP_1)
	v_cmp_ne_u32_e64 s0, v2, v9
	s_wait_alu 0xf1ff
	v_cndmask_b32_e64 v2, 0, 1, s0
	v_cmp_gt_i32_e64 s0, 1, v14
	s_delay_alu instid0(VALU_DEP_2) | instskip(SKIP_2) | instid1(VALU_DEP_2)
	v_or_b32_e32 v2, v10, v2
	v_or_b32_e32 v10, 0x1000, v15
	s_wait_alu 0xf1ff
	v_cndmask_b32_e64 v16, v1, v2, s0
	s_delay_alu instid0(VALU_DEP_2) | instskip(SKIP_2) | instid1(VALU_DEP_3)
	v_lshrrev_b32_e32 v17, v4, v10
	v_mul_f64_e32 v[0:1], s[8:9], v[6:7]
	v_cvt_f64_f32_e32 v[6:7], v8
	v_lshlrev_b32_e32 v4, v4, v17
	v_mad_co_u64_u32 v[8:9], null, s6, v23, 0
	v_and_b32_e32 v2, 7, v16
	s_delay_alu instid0(VALU_DEP_3)
	v_cmp_ne_u32_e64 s1, v4, v10
	ds_load_2addr_b32 v[10:11], v70 offset0:48 offset1:72
	v_cmp_lt_i32_e64 s0, 5, v2
	s_wait_alu 0xf1ff
	v_cndmask_b32_e64 v4, 0, 1, s1
	v_cmp_eq_u32_e64 s1, 3, v2
	v_mov_b32_e32 v2, v9
	v_lshrrev_b32_e32 v9, 2, v16
	s_delay_alu instid0(VALU_DEP_4) | instskip(NEXT) | instid1(VALU_DEP_4)
	v_or_b32_e32 v4, v17, v4
	s_or_b32 s0, s1, s0
	s_wait_alu 0xfffe
	s_delay_alu instid0(VALU_DEP_2) | instskip(SKIP_2) | instid1(VALU_DEP_1)
	v_add_co_ci_u32_e64 v9, s0, 0, v9, s0
	v_cmp_ne_u32_e64 s0, 0, v12
	s_wait_alu 0xf1ff
	v_cndmask_b32_e64 v12, 0, 1, s0
	v_cmp_gt_i32_e64 s0, 1, v18
	s_wait_dscnt 0x0
	v_lshrrev_b32_e32 v17, 16, v10
	s_delay_alu instid0(VALU_DEP_3) | instskip(SKIP_4) | instid1(VALU_DEP_3)
	v_lshl_or_b32 v16, v12, 9, 0x7c00
	s_wait_alu 0xf1ff
	v_cndmask_b32_e64 v4, v13, v4, s0
	v_cmp_gt_i32_e64 s0, 31, v14
	v_mad_co_u64_u32 v[12:13], null, s7, v23, v[2:3]
	v_and_b32_e32 v2, 7, v4
	s_wait_alu 0xf1ff
	s_delay_alu instid0(VALU_DEP_3)
	v_cndmask_b32_e64 v9, 0x7c00, v9, s0
	v_cmp_eq_u32_e64 s0, 0x40f, v14
	v_and_or_b32 v0, 0x1ff, v1, v0
	v_bfe_u32 v20, v1, 20, 11
	v_cmp_eq_u32_e64 s1, 3, v2
	v_mad_co_u64_u32 v[13:14], null, s4, v151, 0
	s_wait_alu 0xf1ff
	v_cndmask_b32_e64 v16, v9, v16, s0
	v_cmp_lt_i32_e64 s0, 5, v2
	v_mul_f16_e32 v9, v27, v17
	v_lshrrev_b32_e32 v2, 2, v4
	v_mul_f64_e32 v[3:4], s[8:9], v[6:7]
	s_delay_alu instid0(VALU_DEP_4) | instskip(NEXT) | instid1(VALU_DEP_3)
	s_or_b32 s0, s1, s0
	v_fmac_f16_e32 v9, v104, v10
	s_wait_alu 0xfffe
	v_add_co_ci_u32_e64 v2, s0, 0, v2, s0
	v_cmp_ne_u32_e64 s0, 0, v15
	s_delay_alu instid0(VALU_DEP_3) | instskip(SKIP_2) | instid1(VALU_DEP_3)
	v_cvt_f32_f16_e32 v6, v9
	v_lshrrev_b32_e32 v9, 8, v1
	s_wait_alu 0xf1ff
	v_cndmask_b32_e64 v15, 0, 1, s0
	v_cmp_ne_u32_e64 s0, 0, v0
	v_cvt_f64_f32_e32 v[6:7], v6
	s_wait_alu 0xf1ff
	s_delay_alu instid0(VALU_DEP_2) | instskip(SKIP_1) | instid1(VALU_DEP_2)
	v_cndmask_b32_e64 v0, 0, 1, s0
	v_cmp_gt_i32_e64 s0, 31, v18
	v_and_or_b32 v23, 0xffe, v9, v0
	v_sub_nc_u32_e32 v0, 0x3f1, v20
	s_wait_alu 0xf1ff
	s_delay_alu instid0(VALU_DEP_3)
	v_cndmask_b32_e64 v2, 0x7c00, v2, s0
	v_lshl_or_b32 v9, v15, 9, 0x7c00
	v_cmp_eq_u32_e64 s0, 0x40f, v18
	v_or_b32_e32 v25, 0x1000, v23
	v_med3_i32 v26, v0, 0, 13
	v_mov_b32_e32 v0, v14
	v_add_nc_u32_e32 v20, 0xfffffc10, v20
	s_wait_alu 0xf1ff
	v_cndmask_b32_e64 v2, v2, v9, s0
	v_mov_b32_e32 v9, v12
	v_lshrrev_b32_e32 v18, v26, v25
	v_mad_co_u64_u32 v[14:15], null, s5, v151, v[0:1]
	v_and_or_b32 v0, 0x8000, v19, v16
	v_and_or_b32 v19, 0x8000, v5, v2
	s_delay_alu instid0(VALU_DEP_4)
	v_lshlrev_b32_e32 v12, v26, v18
	v_mul_f16_e32 v2, v27, v10
	v_and_or_b32 v3, 0x1ff, v4, v3
	v_and_b32_e32 v0, 0xffff, v0
	v_lshrrev_b32_e32 v27, 16, v102
	v_cmp_ne_u32_e64 s0, v12, v25
	v_fma_f16 v2, v104, v17, -v2
	v_lshl_or_b32 v12, v20, 12, v23
	v_lshrrev_b32_e32 v17, 8, v4
	v_lshl_or_b32 v19, v19, 16, v0
	s_wait_alu 0xf1ff
	v_cndmask_b32_e64 v5, 0, 1, s0
	v_cvt_f32_f16_e32 v2, v2
	v_cmp_ne_u32_e64 s0, 0, v3
	v_lshrrev_b32_e32 v1, 16, v1
	s_delay_alu instid0(VALU_DEP_4)
	v_or_b32_e32 v10, v18, v5
	v_mul_f64_e32 v[5:6], s[8:9], v[6:7]
	v_cvt_f64_f32_e32 v[15:16], v2
	s_wait_alu 0xf1ff
	v_cndmask_b32_e64 v3, 0, 1, s0
	v_bfe_u32 v18, v4, 20, 11
	v_cmp_gt_i32_e64 s0, 1, v20
	v_lshrrev_b32_e32 v4, 16, v4
	s_delay_alu instid0(VALU_DEP_4) | instskip(NEXT) | instid1(VALU_DEP_4)
	v_and_or_b32 v17, 0xffe, v17, v3
	v_sub_nc_u32_e32 v7, 0x3f1, v18
	s_wait_alu 0xf1ff
	v_cndmask_b32_e64 v10, v12, v10, s0
	v_lshlrev_b64_e32 v[2:3], 2, v[8:9]
	v_add_nc_u32_e32 v18, 0xfffffc10, v18
	v_or_b32_e32 v9, 0x1000, v17
	v_med3_i32 v12, v7, 0, 13
	v_and_b32_e32 v0, 7, v10
	v_lshrrev_b32_e32 v10, 2, v10
	v_add_co_u32 v2, s0, s10, v2
	s_wait_alu 0xf1ff
	v_add_co_ci_u32_e64 v3, s0, s11, v3, s0
	v_cmp_lt_i32_e64 s0, 5, v0
	v_cmp_eq_u32_e64 s1, 3, v0
	v_lshrrev_b32_e32 v0, v12, v9
	v_lshlrev_b64_e32 v[7:8], 2, v[13:14]
	v_lshrrev_b32_e32 v14, 16, v11
	s_mul_u64 s[10:11], s[4:5], 0xc0
	s_or_b32 s0, s1, s0
	v_lshlrev_b32_e32 v12, v12, v0
	s_wait_alu 0xfffe
	v_add_co_ci_u32_e64 v25, s0, 0, v10, s0
	v_mul_f16_e32 v13, v27, v14
	v_add_co_u32 v7, s2, v2, v7
	v_cmp_ne_u32_e64 s0, v12, v9
	v_lshl_or_b32 v12, v18, 12, v17
	s_delay_alu instid0(VALU_DEP_4)
	v_fmac_f16_e32 v13, v102, v11
	v_mul_f16_e32 v11, v27, v11
	s_wait_alu 0xf1ff
	v_add_co_ci_u32_e64 v8, s2, v3, v8, s2
	v_cndmask_b32_e64 v9, 0, 1, s0
	v_cmp_ne_u32_e64 s0, 0, v23
	v_and_or_b32 v5, 0x1ff, v6, v5
	v_cvt_f32_f16_e32 v13, v13
	global_store_b32 v[7:8], v19, off
	v_or_b32_e32 v0, v0, v9
	s_wait_alu 0xf1ff
	v_cndmask_b32_e64 v23, 0, 1, s0
	v_cmp_gt_i32_e64 s0, 1, v18
	v_mul_f64_e32 v[9:10], s[8:9], v[15:16]
	v_lshrrev_b32_e32 v15, 8, v6
	v_bfe_u32 v16, v6, 20, 11
	v_lshl_or_b32 v23, v23, 9, 0x7c00
	s_wait_alu 0xf1ff
	v_cndmask_b32_e64 v0, v12, v0, s0
	v_cmp_ne_u32_e64 s0, 0, v5
	v_cvt_f64_f32_e32 v[12:13], v13
	v_lshrrev_b32_e32 v27, 16, v99
	v_lshrrev_b32_e32 v6, 16, v6
	v_and_b32_e32 v26, 7, v0
	s_wait_alu 0xf1ff
	v_cndmask_b32_e64 v5, 0, 1, s0
	v_cmp_gt_i32_e64 s0, 31, v20
	v_lshrrev_b32_e32 v0, 2, v0
	s_mul_u64 s[2:3], s[4:5], 24
	v_cmp_eq_u32_e64 s1, 3, v26
	v_and_or_b32 v15, 0xffe, v15, v5
	v_cndmask_b32_e64 v25, 0x7c00, v25, s0
	v_sub_nc_u32_e32 v5, 0x3f1, v16
	v_cmp_eq_u32_e64 s0, 0x40f, v20
	v_add_nc_u32_e32 v16, 0xfffffc10, v16
	s_wait_alu 0xfffe
	s_lshl_b64 s[6:7], s[2:3], 2
	v_med3_i32 v5, v5, 0, 13
	v_cndmask_b32_e64 v20, v25, v23, s0
	v_or_b32_e32 v23, 0x1000, v15
	v_cmp_lt_i32_e64 s0, 5, v26
	s_delay_alu instid0(VALU_DEP_3) | instskip(NEXT) | instid1(VALU_DEP_3)
	v_and_or_b32 v20, 0x8000, v1, v20
	v_lshrrev_b32_e32 v25, v5, v23
	s_delay_alu instid0(VALU_DEP_3)
	s_or_b32 s0, s1, s0
	v_fma_f16 v1, v102, v14, -v11
	s_wait_alu 0xfffe
	v_add_co_ci_u32_e64 v0, s0, 0, v0, s0
	v_lshlrev_b32_e32 v5, v5, v25
	v_cmp_gt_i32_e64 s0, 31, v18
	v_cvt_f32_f16_e32 v1, v1
	v_and_b32_e32 v20, 0xffff, v20
	v_and_or_b32 v9, 0x1ff, v10, v9
	s_wait_alu 0xf1ff
	v_cndmask_b32_e64 v14, 0x7c00, v0, s0
	v_cmp_ne_u32_e64 s0, v5, v23
	v_lshl_or_b32 v23, v16, 12, v15
	v_mul_f64_e32 v[11:12], s[8:9], v[12:13]
	v_lshrrev_b32_e32 v13, 8, v10
	s_wait_alu 0xf1ff
	v_cndmask_b32_e64 v0, 0, 1, s0
	v_cmp_ne_u32_e64 s0, 0, v17
	s_delay_alu instid0(VALU_DEP_2) | instskip(SKIP_1) | instid1(VALU_DEP_2)
	v_or_b32_e32 v17, v25, v0
	s_wait_alu 0xf1ff
	v_cndmask_b32_e64 v5, 0, 1, s0
	v_cmp_ne_u32_e64 s0, 0, v9
	v_cvt_f64_f32_e32 v[0:1], v1
	v_bfe_u32 v25, v10, 20, 11
	s_delay_alu instid0(VALU_DEP_4) | instskip(SKIP_3) | instid1(VALU_DEP_2)
	v_lshl_or_b32 v5, v5, 9, 0x7c00
	s_wait_alu 0xf1ff
	v_cndmask_b32_e64 v9, 0, 1, s0
	v_cmp_gt_i32_e64 s0, 1, v16
	v_and_or_b32 v9, 0xffe, v13, v9
	v_sub_nc_u32_e32 v13, 0x3f1, v25
	s_wait_alu 0xf1ff
	s_delay_alu instid0(VALU_DEP_3) | instskip(SKIP_4) | instid1(VALU_DEP_3)
	v_cndmask_b32_e64 v17, v23, v17, s0
	v_cmp_eq_u32_e64 s0, 0x40f, v18
	v_or_b32_e32 v18, 0x1000, v9
	v_med3_i32 v13, v13, 0, 13
	s_wait_alu 0xf1ff
	v_cndmask_b32_e64 v5, v14, v5, s0
	v_and_b32_e32 v14, 7, v17
	s_delay_alu instid0(VALU_DEP_3) | instskip(NEXT) | instid1(VALU_DEP_3)
	v_lshrrev_b32_e32 v23, v13, v18
	v_and_or_b32 v19, 0x8000, v4, v5
	s_delay_alu instid0(VALU_DEP_3)
	v_cmp_lt_i32_e64 s0, 5, v14
	v_cmp_eq_u32_e64 s1, 3, v14
	v_lshrrev_b32_e32 v14, 2, v17
	ds_load_2addr_b32 v[4:5], v70 offset0:96 offset1:120
	v_lshlrev_b32_e32 v13, v13, v23
	v_lshl_or_b32 v17, v19, 16, v20
	s_or_b32 s0, s1, s0
	v_and_or_b32 v11, 0x1ff, v12, v11
	s_wait_alu 0xfffe
	v_add_co_ci_u32_e64 v14, s0, 0, v14, s0
	v_cmp_ne_u32_e64 s0, v13, v18
	v_add_nc_u32_e32 v18, 0xfffffc10, v25
	v_bfe_u32 v25, v12, 20, 11
	s_wait_alu 0xf1ff
	s_delay_alu instid0(VALU_DEP_3) | instskip(SKIP_3) | instid1(VALU_DEP_4)
	v_cndmask_b32_e64 v13, 0, 1, s0
	v_cmp_gt_i32_e64 s0, 31, v16
	v_mul_f64_e32 v[0:1], s[8:9], v[0:1]
	v_lshl_or_b32 v19, v18, 12, v9
	v_or_b32_e32 v13, v23, v13
	s_wait_alu 0xf1ff
	v_cndmask_b32_e64 v14, 0x7c00, v14, s0
	v_cmp_ne_u32_e64 s0, 0, v15
	s_wait_dscnt 0x0
	v_lshrrev_b32_e32 v20, 16, v4
	v_lshrrev_b32_e32 v23, 8, v12
	;; [unrolled: 1-line block ×3, first 2 shown]
	s_wait_alu 0xf1ff
	v_cndmask_b32_e64 v15, 0, 1, s0
	v_cmp_gt_i32_e64 s0, 1, v18
	s_delay_alu instid0(VALU_DEP_2) | instskip(SKIP_1) | instid1(VALU_DEP_2)
	v_lshl_or_b32 v15, v15, 9, 0x7c00
	s_wait_alu 0xf1ff
	v_cndmask_b32_e64 v19, v19, v13, s0
	v_cmp_ne_u32_e64 s0, 0, v11
	v_mul_f16_e32 v13, v27, v20
	s_delay_alu instid0(VALU_DEP_3) | instskip(SKIP_1) | instid1(VALU_DEP_3)
	v_and_b32_e32 v26, 7, v19
	s_wait_alu 0xf1ff
	v_cndmask_b32_e64 v11, 0, 1, s0
	s_delay_alu instid0(VALU_DEP_3)
	v_fmac_f16_e32 v13, v99, v4
	v_cmp_eq_u32_e64 s0, 0x40f, v16
	v_lshrrev_b32_e32 v19, 2, v19
	v_cmp_eq_u32_e64 s1, 3, v26
	v_and_or_b32 v11, 0xffe, v23, v11
	v_sub_nc_u32_e32 v23, 0x3f1, v25
	v_cvt_f32_f16_e32 v13, v13
	s_wait_alu 0xf1ff
	v_cndmask_b32_e64 v15, v14, v15, s0
	v_cmp_lt_i32_e64 s0, 5, v26
	v_or_b32_e32 v16, 0x1000, v11
	v_med3_i32 v23, v23, 0, 13
	v_cvt_f64_f32_e32 v[13:14], v13
	v_mul_f16_e32 v4, v27, v4
	s_or_b32 s0, s1, s0
	v_and_or_b32 v27, 0x8000, v6, v15
	v_lshrrev_b32_e32 v26, v23, v16
	s_wait_alu 0xfffe
	v_add_co_ci_u32_e64 v19, s0, 0, v19, s0
	v_cmp_gt_i32_e64 s0, 31, v18
	v_fma_f16 v4, v99, v20, -v4
	v_lshlrev_b32_e32 v6, v23, v26
	v_and_or_b32 v0, 0x1ff, v1, v0
	v_add_nc_u32_e32 v20, 0xfffffc10, v25
	s_wait_alu 0xf1ff
	v_cndmask_b32_e64 v19, 0x7c00, v19, s0
	v_cvt_f32_f16_e32 v4, v4
	v_cmp_ne_u32_e64 s0, v6, v16
	v_lshrrev_b32_e32 v23, 8, v1
	v_bfe_u32 v25, v1, 20, 11
	v_lshrrev_b32_e32 v1, 16, v1
	v_cvt_f64_f32_e32 v[15:16], v4
	s_wait_alu 0xf1ff
	v_cndmask_b32_e64 v6, 0, 1, s0
	v_cmp_ne_u32_e64 s0, 0, v0
	s_delay_alu instid0(VALU_DEP_2) | instskip(SKIP_1) | instid1(VALU_DEP_2)
	v_or_b32_e32 v6, v26, v6
	s_wait_alu 0xf1ff
	v_cndmask_b32_e64 v0, 0, 1, s0
	v_cmp_ne_u32_e64 s0, 0, v9
	v_lshl_or_b32 v9, v20, 12, v11
	s_delay_alu instid0(VALU_DEP_3) | instskip(SKIP_1) | instid1(VALU_DEP_3)
	v_and_or_b32 v0, 0xffe, v23, v0
	s_wait_alu 0xf1ff
	v_cndmask_b32_e64 v4, 0, 1, s0
	v_sub_nc_u32_e32 v23, 0x3f1, v25
	v_cmp_gt_i32_e64 s0, 1, v20
	v_or_b32_e32 v28, 0x1000, v0
	s_delay_alu instid0(VALU_DEP_4) | instskip(NEXT) | instid1(VALU_DEP_4)
	v_lshl_or_b32 v4, v4, 9, 0x7c00
	v_med3_i32 v23, v23, 0, 13
	s_wait_alu 0xf1ff
	v_cndmask_b32_e64 v26, v9, v6, s0
	v_cmp_eq_u32_e64 s0, 0x40f, v18
	v_lshrrev_b32_e32 v18, 16, v10
	v_mul_f64_e32 v[9:10], s[8:9], v[13:14]
	v_lshrrev_b32_e32 v13, v23, v28
	v_lshrrev_b32_e32 v14, 2, v26
	s_wait_alu 0xf1ff
	v_cndmask_b32_e64 v4, v19, v4, s0
	v_and_b32_e32 v19, 7, v26
	v_add_co_u32 v6, s0, v7, s6
	s_wait_alu 0xf1ff
	v_add_co_ci_u32_e64 v7, s0, s7, v8, s0
	v_lshlrev_b32_e32 v8, v23, v13
	v_cmp_lt_i32_e64 s0, 5, v19
	v_cmp_eq_u32_e64 s1, 3, v19
	v_add_nc_u32_e32 v19, 0xfffffc10, v25
	global_store_b32 v[6:7], v17, off
	v_cmp_ne_u32_e64 s2, v8, v28
	v_and_or_b32 v4, 0x8000, v18, v4
	s_or_b32 s0, s1, s0
	v_lshl_or_b32 v25, v19, 12, v0
	s_wait_alu 0xfffe
	v_add_co_ci_u32_e64 v23, s0, 0, v14, s0
	v_cmp_ne_u32_e64 s0, 0, v11
	v_cndmask_b32_e64 v8, 0, 1, s2
	v_and_b32_e32 v18, 0xffff, v27
	s_wait_alu 0xf1ff
	s_delay_alu instid0(VALU_DEP_3)
	v_cndmask_b32_e64 v11, 0, 1, s0
	v_cmp_gt_i32_e64 s0, 31, v20
	v_or_b32_e32 v8, v13, v8
	v_mul_f64_e32 v[13:14], s[8:9], v[15:16]
	v_lshrrev_b32_e32 v16, 16, v5
	v_lshl_or_b32 v11, v11, 9, 0x7c00
	s_wait_alu 0xf1ff
	v_cndmask_b32_e64 v15, 0x7c00, v23, s0
	v_cmp_gt_i32_e64 s0, 1, v19
	v_lshl_or_b32 v18, v4, 16, v18
	s_wait_alu 0xf1ff
	s_delay_alu instid0(VALU_DEP_2) | instskip(SKIP_3) | instid1(VALU_DEP_4)
	v_cndmask_b32_e64 v8, v25, v8, s0
	v_cmp_eq_u32_e64 s0, 0x40f, v20
	v_lshrrev_b32_e32 v25, 16, v97
	v_and_or_b32 v9, 0x1ff, v10, v9
	v_and_b32_e32 v17, 7, v8
	s_wait_alu 0xf1ff
	v_cndmask_b32_e64 v11, v15, v11, s0
	v_mul_f16_e32 v15, v25, v16
	v_cmp_ne_u32_e64 s2, 0, v9
	v_cmp_lt_i32_e64 s0, 5, v17
	v_cmp_eq_u32_e64 s1, 3, v17
	v_and_or_b32 v4, 0x8000, v12, v11
	v_lshrrev_b32_e32 v11, 2, v8
	v_fmac_f16_e32 v15, v97, v5
	s_wait_alu 0xf1ff
	v_cndmask_b32_e64 v12, 0, 1, s2
	s_or_b32 s0, s1, s0
	v_bfe_u32 v17, v10, 20, 11
	s_wait_alu 0xfffe
	v_add_co_ci_u32_e64 v11, s0, 0, v11, s0
	v_cvt_f32_f16_e32 v8, v15
	v_lshrrev_b32_e32 v15, 8, v10
	v_cmp_ne_u32_e64 s0, 0, v0
	v_mul_f16_e32 v5, v25, v5
	v_lshrrev_b32_e32 v10, 16, v10
	v_cvt_f64_f32_e32 v[8:9], v8
	v_and_or_b32 v15, 0xffe, v15, v12
	s_wait_alu 0xf1ff
	v_cndmask_b32_e64 v0, 0, 1, s0
	v_sub_nc_u32_e32 v12, 0x3f1, v17
	v_cmp_gt_i32_e64 s0, 31, v19
	v_and_or_b32 v13, 0x1ff, v14, v13
	v_or_b32_e32 v20, 0x1000, v15
	v_lshl_or_b32 v0, v0, 9, 0x7c00
	v_med3_i32 v12, v12, 0, 13
	s_wait_alu 0xf1ff
	v_cndmask_b32_e64 v11, 0x7c00, v11, s0
	v_cmp_eq_u32_e64 s0, 0x40f, v19
	v_lshrrev_b32_e32 v19, 8, v14
	v_bfe_u32 v23, v14, 20, 11
	s_wait_alu 0xf1ff
	s_delay_alu instid0(VALU_DEP_3) | instskip(SKIP_2) | instid1(VALU_DEP_3)
	v_cndmask_b32_e64 v0, v11, v0, s0
	v_lshrrev_b32_e32 v11, v12, v20
	v_cmp_ne_u32_e64 s0, 0, v13
	v_and_or_b32 v25, 0x8000, v1, v0
	s_delay_alu instid0(VALU_DEP_3) | instskip(SKIP_1) | instid1(VALU_DEP_3)
	v_lshlrev_b32_e32 v12, v12, v11
	s_wait_alu 0xf1ff
	v_cndmask_b32_e64 v13, 0, 1, s0
	v_sub_nc_u32_e32 v0, 0x3f1, v23
	v_fma_f16 v1, v97, v16, -v5
	v_add_nc_u32_e32 v16, 0xfffffc10, v17
	v_cmp_ne_u32_e64 s0, v12, v20
	v_and_or_b32 v13, 0xffe, v19, v13
	v_med3_i32 v12, v0, 0, 13
	v_and_b32_e32 v19, 0xffff, v4
	v_lshl_or_b32 v20, v16, 12, v15
	s_wait_alu 0xf1ff
	v_cndmask_b32_e64 v5, 0, 1, s0
	v_or_b32_e32 v17, 0x1000, v13
	v_add_co_u32 v6, s0, v6, s6
	s_wait_alu 0xf1ff
	v_add_co_ci_u32_e64 v7, s0, s7, v7, s0
	v_or_b32_e32 v11, v11, v5
	v_cmp_gt_i32_e64 s0, 1, v16
	v_lshrrev_b32_e32 v26, v12, v17
	v_lshl_or_b32 v19, v25, 16, v19
	v_mul_f64_e32 v[4:5], s[8:9], v[8:9]
	ds_load_2addr_b32 v[8:9], v70 offset0:144 offset1:168
	s_wait_alu 0xf1ff
	v_cndmask_b32_e64 v20, v20, v11, s0
	v_add_co_u32 v11, s0, v6, s6
	v_lshlrev_b32_e32 v25, v12, v26
	s_wait_alu 0xf1ff
	v_add_co_ci_u32_e64 v12, s0, s7, v7, s0
	s_clause 0x1
	global_store_b32 v[6:7], v18, off
	global_store_b32 v[11:12], v19, off
	s_clause 0x2
	scratch_load_b32 v28, off, off offset:76 th:TH_LOAD_LU
	scratch_load_b32 v30, off, off offset:84 th:TH_LOAD_LU
	;; [unrolled: 1-line block ×3, first 2 shown]
	v_cvt_f32_f16_e32 v1, v1
	v_cmp_ne_u32_e64 s0, v25, v17
	v_and_b32_e32 v27, 7, v20
	v_add_nc_u32_e32 v23, 0xfffffc10, v23
	v_lshrrev_b32_e32 v18, 2, v20
	v_cvt_f64_f32_e32 v[0:1], v1
	s_wait_alu 0xf1ff
	v_cndmask_b32_e64 v17, 0, 1, s0
	v_cmp_lt_i32_e64 s0, 5, v27
	v_cmp_eq_u32_e64 s1, 3, v27
	v_lshl_or_b32 v7, v23, 12, v13
	v_cmp_gt_i32_e64 s2, 1, v23
	v_or_b32_e32 v6, v26, v17
	s_wait_dscnt 0x0
	v_lshrrev_b32_e32 v17, 16, v8
	v_lshrrev_b32_e32 v26, 16, v95
	s_or_b32 s0, s1, s0
	v_cndmask_b32_e64 v19, v7, v6, s2
	s_wait_alu 0xfffe
	v_add_co_ci_u32_e64 v7, s0, 0, v18, s0
	v_mul_f16_e32 v6, v26, v17
	v_cmp_ne_u32_e64 s0, 0, v15
	v_and_b32_e32 v18, 7, v19
	v_and_or_b32 v4, 0x1ff, v5, v4
	s_wait_alu 0xf1ff
	s_delay_alu instid0(VALU_DEP_3)
	v_cndmask_b32_e64 v15, 0, 1, s0
	v_fmac_f16_e32 v6, v95, v8
	v_cmp_gt_i32_e64 s0, 31, v16
	v_cmp_eq_u32_e64 s1, 3, v18
	v_cmp_ne_u32_e64 s2, 0, v4
	v_lshl_or_b32 v15, v15, 9, 0x7c00
	v_cvt_f32_f16_e32 v6, v6
	s_wait_alu 0xf1ff
	v_cndmask_b32_e64 v20, 0x7c00, v7, s0
	v_cmp_lt_i32_e64 s0, 5, v18
	v_cndmask_b32_e64 v4, 0, 1, s2
	v_cmp_eq_u32_e64 s2, 0x40f, v16
	v_cvt_f64_f32_e32 v[6:7], v6
	v_lshrrev_b32_e32 v18, 8, v5
	v_bfe_u32 v25, v5, 20, 11
	s_or_b32 s0, s1, s0
	v_cndmask_b32_e64 v20, v20, v15, s2
	v_lshrrev_b32_e32 v15, 2, v19
	v_and_or_b32 v4, 0xffe, v18, v4
	v_mul_f64_e32 v[0:1], s[8:9], v[0:1]
	v_sub_nc_u32_e32 v16, 0x3f1, v25
	v_mul_f16_e32 v8, v26, v8
	s_wait_alu 0xfffe
	v_add_co_ci_u32_e64 v15, s0, 0, v15, s0
	v_cmp_ne_u32_e64 s0, 0, v13
	v_or_b32_e32 v18, 0x1000, v4
	v_med3_i32 v16, v16, 0, 13
	v_fma_f16 v8, v95, v17, -v8
	v_lshrrev_b32_e32 v26, 16, v14
	s_wait_alu 0xf1ff
	v_cndmask_b32_e64 v13, 0, 1, s0
	v_cmp_gt_i32_e64 s0, 31, v23
	v_lshrrev_b32_e32 v19, v16, v18
	v_cvt_f32_f16_e32 v8, v8
	v_add_nc_u32_e32 v25, 0xfffffc10, v25
	v_lshl_or_b32 v13, v13, 9, 0x7c00
	s_wait_alu 0xf1ff
	v_cndmask_b32_e64 v15, 0x7c00, v15, s0
	v_cmp_eq_u32_e64 s0, 0x40f, v23
	v_and_or_b32 v10, 0x8000, v10, v20
	v_lshrrev_b32_e32 v5, 16, v5
	s_wait_alu 0xf1ff
	s_delay_alu instid0(VALU_DEP_3) | instskip(SKIP_2) | instid1(VALU_DEP_3)
	v_cndmask_b32_e64 v23, v15, v13, s0
	v_lshlrev_b32_e32 v15, v16, v19
	v_and_b32_e32 v10, 0xffff, v10
	v_and_or_b32 v20, 0x8000, v26, v23
	s_delay_alu instid0(VALU_DEP_3)
	v_cmp_ne_u32_e64 s0, v15, v18
	v_cvt_f64_f32_e32 v[15:16], v8
	v_lshrrev_b32_e32 v26, 16, v9
	v_mul_f64_e32 v[6:7], s[8:9], v[6:7]
	v_lshl_or_b32 v20, v20, 16, v10
	s_wait_alu 0xf1ff
	v_cndmask_b32_e64 v17, 0, 1, s0
	v_and_or_b32 v0, 0x1ff, v1, v0
	v_lshrrev_b32_e32 v18, 8, v1
	v_bfe_u32 v27, v1, 20, 11
	s_delay_alu instid0(VALU_DEP_4) | instskip(SKIP_3) | instid1(VALU_DEP_1)
	v_or_b32_e32 v17, v19, v17
	v_lshl_or_b32 v19, v25, 12, v4
	v_cmp_ne_u32_e64 s0, 0, v0
	s_wait_alu 0xf1ff
	v_cndmask_b32_e64 v8, 0, 1, s0
	v_cmp_gt_i32_e64 s0, 1, v25
	s_delay_alu instid0(VALU_DEP_2) | instskip(SKIP_1) | instid1(VALU_DEP_2)
	v_and_or_b32 v8, 0xffe, v18, v8
	s_wait_alu 0xf1ff
	v_cndmask_b32_e64 v19, v19, v17, s0
	v_mul_f64_e32 v[15:16], s[8:9], v[15:16]
	v_and_or_b32 v6, 0x1ff, v7, v6
	s_delay_alu instid0(VALU_DEP_2) | instskip(SKIP_2) | instid1(VALU_DEP_1)
	v_and_or_b32 v15, 0x1ff, v16, v15
	s_wait_loadcnt 0x2
	v_mad_co_u64_u32 v[13:14], null, s4, v28, 0
	v_mov_b32_e32 v0, v14
	v_sub_nc_u32_e32 v14, 0x3f1, v27
	s_delay_alu instid0(VALU_DEP_2) | instskip(SKIP_1) | instid1(VALU_DEP_3)
	v_mad_co_u64_u32 v[17:18], null, s5, v28, v[0:1]
	v_or_b32_e32 v0, 0x1000, v8
	v_med3_i32 v18, v14, 0, 13
	v_and_b32_e32 v14, 7, v19
	v_bfe_u32 v28, v7, 20, 11
	s_delay_alu instid0(VALU_DEP_3) | instskip(NEXT) | instid1(VALU_DEP_3)
	v_lshrrev_b32_e32 v23, v18, v0
	v_cmp_lt_i32_e64 s0, 5, v14
	v_cmp_eq_u32_e64 s1, 3, v14
	v_mov_b32_e32 v14, v17
	v_lshrrev_b32_e32 v17, 2, v19
	v_lshlrev_b32_e32 v18, v18, v23
	v_add_nc_u32_e32 v19, 0xfffffc10, v27
	s_or_b32 s0, s1, s0
	s_wait_alu 0xfffe
	v_add_co_ci_u32_e64 v17, s0, 0, v17, s0
	v_cmp_ne_u32_e64 s0, v18, v0
	v_lshl_or_b32 v18, v19, 12, v8
	s_wait_alu 0xf1ff
	s_delay_alu instid0(VALU_DEP_2) | instskip(SKIP_1) | instid1(VALU_DEP_2)
	v_cndmask_b32_e64 v0, 0, 1, s0
	v_cmp_gt_i32_e64 s0, 31, v25
	v_or_b32_e32 v0, v23, v0
	s_wait_alu 0xf1ff
	s_delay_alu instid0(VALU_DEP_2)
	v_cndmask_b32_e64 v27, 0x7c00, v17, s0
	v_cmp_ne_u32_e64 s0, 0, v4
	v_lshrrev_b32_e32 v23, 8, v7
	s_wait_loadcnt 0x0
	v_mul_f16_e32 v17, v31, v26
	v_lshrrev_b32_e32 v7, 16, v7
	s_wait_alu 0xf1ff
	v_cndmask_b32_e64 v4, 0, 1, s0
	v_cmp_gt_i32_e64 s0, 1, v19
	v_fmac_f16_e32 v17, v30, v9
	s_delay_alu instid0(VALU_DEP_3) | instskip(SKIP_1) | instid1(VALU_DEP_3)
	v_lshl_or_b32 v4, v4, 9, 0x7c00
	s_wait_alu 0xf1ff
	v_cndmask_b32_e64 v0, v18, v0, s0
	v_cmp_ne_u32_e64 s0, 0, v6
	v_cvt_f32_f16_e32 v17, v17
	s_delay_alu instid0(VALU_DEP_3) | instskip(SKIP_1) | instid1(VALU_DEP_3)
	v_and_b32_e32 v29, 7, v0
	s_wait_alu 0xf1ff
	v_cndmask_b32_e64 v6, 0, 1, s0
	v_cmp_eq_u32_e64 s0, 0x40f, v25
	v_lshrrev_b32_e32 v0, 2, v0
	v_cvt_f64_f32_e32 v[17:18], v17
	v_cmp_eq_u32_e64 s1, 3, v29
	v_and_or_b32 v6, 0xffe, v23, v6
	s_wait_alu 0xf1ff
	v_cndmask_b32_e64 v4, v27, v4, s0
	v_cmp_lt_i32_e64 s0, 5, v29
	v_sub_nc_u32_e32 v23, 0x3f1, v28
	v_or_b32_e32 v25, 0x1000, v6
	s_delay_alu instid0(VALU_DEP_4) | instskip(NEXT) | instid1(VALU_DEP_4)
	v_and_or_b32 v10, 0x8000, v5, v4
	s_or_b32 s0, s1, s0
	s_delay_alu instid0(VALU_DEP_3)
	v_med3_i32 v23, v23, 0, 13
	s_wait_alu 0xfffe
	v_add_co_ci_u32_e64 v0, s0, 0, v0, s0
	v_cmp_ne_u32_e64 s0, 0, v8
	v_and_b32_e32 v10, 0xffff, v10
	v_lshrrev_b32_e32 v4, v23, v25
	s_wait_alu 0xf1ff
	s_delay_alu instid0(VALU_DEP_3) | instskip(SKIP_1) | instid1(VALU_DEP_3)
	v_cndmask_b32_e64 v5, 0, 1, s0
	v_cmp_gt_i32_e64 s0, 31, v19
	v_lshlrev_b32_e32 v8, v23, v4
	s_delay_alu instid0(VALU_DEP_3)
	v_lshl_or_b32 v23, v5, 9, 0x7c00
	v_mul_f16_e32 v5, v31, v9
	scratch_load_b32 v31, off, off offset:72 th:TH_LOAD_LU ; 4-byte Folded Reload
	s_wait_alu 0xf1ff
	v_cndmask_b32_e64 v0, 0x7c00, v0, s0
	v_cmp_ne_u32_e64 s0, v8, v25
	v_bfe_u32 v25, v16, 20, 11
	v_fma_f16 v5, v30, v26, -v5
	scratch_load_b32 v30, off, off offset:80 th:TH_LOAD_LU ; 4-byte Folded Reload
	v_add_nc_u32_e32 v26, 0xfffffc10, v28
	s_wait_alu 0xf1ff
	v_cndmask_b32_e64 v8, 0, 1, s0
	v_cmp_ne_u32_e64 s0, 0, v15
	v_lshrrev_b32_e32 v15, 8, v16
	v_sub_nc_u32_e32 v28, 0x3f1, v25
	v_lshl_or_b32 v29, v26, 12, v6
	v_or_b32_e32 v27, v4, v8
	s_wait_alu 0xf1ff
	v_cndmask_b32_e64 v9, 0, 1, s0
	v_cvt_f32_f16_e32 v8, v5
	v_mul_f64_e32 v[4:5], s[8:9], v[17:18]
	v_med3_i32 v18, v28, 0, 13
	v_cmp_eq_u32_e64 s0, 0x40f, v19
	v_and_or_b32 v15, 0xffe, v15, v9
	v_cvt_f64_f32_e32 v[8:9], v8
	v_add_nc_u32_e32 v25, 0xfffffc10, v25
	s_wait_alu 0xf1ff
	v_cndmask_b32_e64 v19, v0, v23, s0
	v_or_b32_e32 v17, 0x1000, v15
	v_cmp_gt_i32_e64 s0, 1, v26
	v_lshrrev_b32_e32 v23, 16, v1
	v_lshlrev_b64_e32 v[0:1], 2, v[13:14]
	ds_load_2addr_b32 v[13:14], v70 offset0:192 offset1:216
	v_lshrrev_b32_e32 v28, v18, v17
	s_wait_alu 0xf1ff
	v_cndmask_b32_e64 v27, v29, v27, s0
	v_and_or_b32 v19, 0x8000, v23, v19
	v_add_co_u32 v0, s0, v2, v0
	v_lshlrev_b32_e32 v18, v18, v28
	s_delay_alu instid0(VALU_DEP_4)
	v_and_b32_e32 v23, 7, v27
	s_wait_alu 0xf1ff
	v_add_co_ci_u32_e64 v1, s0, v3, v1, s0
	v_lshl_or_b32 v19, v19, 16, v10
	v_cmp_ne_u32_e64 s1, v18, v17
	v_cmp_lt_i32_e64 s0, 5, v23
	v_lshrrev_b32_e32 v17, 2, v27
	v_lshl_or_b32 v18, v25, 12, v15
	s_wait_alu 0xf1ff
	v_cndmask_b32_e64 v10, 0, 1, s1
	v_cmp_eq_u32_e64 s1, 3, v23
	s_wait_dscnt 0x0
	v_lshrrev_b32_e32 v23, 16, v13
	s_delay_alu instid0(VALU_DEP_3) | instskip(NEXT) | instid1(VALU_DEP_3)
	v_or_b32_e32 v10, v28, v10
	s_or_b32 s0, s1, s0
	s_wait_alu 0xfffe
	v_add_co_ci_u32_e64 v17, s0, 0, v17, s0
	v_cmp_ne_u32_e64 s0, 0, v6
	v_and_or_b32 v4, 0x1ff, v5, v4
	v_lshrrev_b32_e32 v28, 8, v5
	v_mul_f64_e32 v[8:9], s[8:9], v[8:9]
	v_bfe_u32 v29, v5, 20, 11
	s_wait_alu 0xf1ff
	v_cndmask_b32_e64 v6, 0, 1, s0
	v_cmp_gt_i32_e64 s0, 1, v25
	s_delay_alu instid0(VALU_DEP_2) | instskip(SKIP_1) | instid1(VALU_DEP_2)
	v_lshl_or_b32 v6, v6, 9, 0x7c00
	s_wait_alu 0xf1ff
	v_cndmask_b32_e64 v10, v18, v10, s0
	v_cmp_gt_i32_e64 s0, 31, v26
	s_delay_alu instid0(VALU_DEP_2) | instskip(SKIP_1) | instid1(VALU_DEP_2)
	v_and_b32_e32 v27, 7, v10
	s_wait_alu 0xf1ff
	v_cndmask_b32_e64 v17, 0x7c00, v17, s0
	v_cmp_ne_u32_e64 s0, 0, v4
	v_lshrrev_b32_e32 v10, 2, v10
	v_cmp_eq_u32_e64 s1, 3, v27
	s_wait_alu 0xf1ff
	s_delay_alu instid0(VALU_DEP_3) | instskip(SKIP_2) | instid1(VALU_DEP_3)
	v_cndmask_b32_e64 v4, 0, 1, s0
	v_cmp_eq_u32_e64 s0, 0x40f, v26
	v_sub_nc_u32_e32 v26, 0x3f1, v29
	v_and_or_b32 v4, 0xffe, v28, v4
	s_wait_alu 0xf1ff
	s_delay_alu instid0(VALU_DEP_3) | instskip(SKIP_3) | instid1(VALU_DEP_3)
	v_cndmask_b32_e64 v6, v17, v6, s0
	v_cmp_lt_i32_e64 s0, 5, v27
	v_med3_i32 v26, v26, 0, 13
	v_or_b32_e32 v27, 0x1000, v4
	s_or_b32 s0, s1, s0
	s_wait_alu 0xfffe
	v_add_co_ci_u32_e64 v10, s0, 0, v10, s0
	v_cmp_ne_u32_e64 s0, 0, v15
	v_lshrrev_b32_e32 v28, v26, v27
	v_and_or_b32 v8, 0x1ff, v9, v8
	s_wait_alu 0xf1ff
	s_delay_alu instid0(VALU_DEP_3) | instskip(SKIP_1) | instid1(VALU_DEP_2)
	v_cndmask_b32_e64 v15, 0, 1, s0
	v_cmp_gt_i32_e64 s0, 31, v25
	v_lshl_or_b32 v15, v15, 9, 0x7c00
	s_wait_alu 0xf1ff
	s_delay_alu instid0(VALU_DEP_2) | instskip(SKIP_2) | instid1(VALU_DEP_1)
	v_cndmask_b32_e64 v10, 0x7c00, v10, s0
	v_cmp_eq_u32_e64 s0, 0x40f, v25
	s_wait_alu 0xf1ff
	v_cndmask_b32_e64 v25, v10, v15, s0
	v_lshrrev_b32_e32 v10, 8, v9
	s_wait_loadcnt 0x0
	v_mul_f16_e32 v18, v30, v23
	s_delay_alu instid0(VALU_DEP_1) | instskip(SKIP_3) | instid1(VALU_DEP_4)
	v_fmac_f16_e32 v18, v31, v13
	v_mul_f16_e32 v13, v30, v13
	v_and_or_b32 v30, 0x8000, v7, v6
	v_lshlrev_b32_e32 v6, v26, v28
	v_cvt_f32_f16_e32 v17, v18
	s_delay_alu instid0(VALU_DEP_4) | instskip(SKIP_1) | instid1(VALU_DEP_4)
	v_fma_f16 v7, v31, v23, -v13
	v_add_nc_u32_e32 v13, 0xfffffc10, v29
	v_cmp_ne_u32_e64 s0, v6, v27
	v_bfe_u32 v23, v9, 20, 11
	v_cvt_f64_f32_e32 v[17:18], v17
	v_lshrrev_b32_e32 v27, 16, v16
	v_lshl_or_b32 v26, v13, 12, v4
	s_wait_alu 0xf1ff
	v_cndmask_b32_e64 v6, 0, 1, s0
	v_cmp_ne_u32_e64 s0, 0, v8
	v_cvt_f32_f16_e32 v7, v7
	s_delay_alu instid0(VALU_DEP_3) | instskip(SKIP_1) | instid1(VALU_DEP_3)
	v_or_b32_e32 v15, v28, v6
	s_wait_alu 0xf1ff
	v_cndmask_b32_e64 v8, 0, 1, s0
	v_cmp_gt_i32_e64 s0, 1, v13
	v_cvt_f64_f32_e32 v[6:7], v7
	s_delay_alu instid0(VALU_DEP_3) | instskip(SKIP_3) | instid1(VALU_DEP_3)
	v_and_or_b32 v8, 0xffe, v10, v8
	v_sub_nc_u32_e32 v10, 0x3f1, v23
	s_wait_alu 0xf1ff
	v_cndmask_b32_e64 v26, v26, v15, s0
	v_or_b32_e32 v28, 0x1000, v8
	v_mul_f64_e32 v[15:16], s[8:9], v[17:18]
	v_med3_i32 v17, v10, 0, 13
	v_add_co_u32 v10, s0, v11, s10
	s_wait_alu 0xf1ff
	v_add_co_ci_u32_e64 v11, s0, s11, v12, s0
	s_delay_alu instid0(VALU_DEP_3)
	v_lshrrev_b32_e32 v18, v17, v28
	s_clause 0x1
	global_store_b32 v[0:1], v20, off
	global_store_b32 v[10:11], v19, off
	v_and_or_b32 v12, 0x8000, v27, v25
	v_and_b32_e32 v25, 0xffff, v30
	v_lshlrev_b32_e32 v0, v17, v18
	v_add_nc_u32_e32 v17, 0xfffffc10, v23
	s_clause 0x2
	scratch_load_b32 v23, off, off offset:68 th:TH_LOAD_LU
	scratch_load_b32 v30, off, off offset:60 th:TH_LOAD_LU
	;; [unrolled: 1-line block ×3, first 2 shown]
	v_lshl_or_b32 v12, v12, 16, v25
	scratch_load_b32 v25, off, off offset:64 th:TH_LOAD_LU ; 4-byte Folded Reload
	v_cmp_ne_u32_e64 s2, v0, v28
	scratch_load_b32 v28, off, off offset:44 th:TH_LOAD_LU ; 4-byte Folded Reload
	v_and_b32_e32 v27, 7, v26
	v_lshrrev_b32_e32 v1, 2, v26
	v_lshl_or_b32 v19, v17, 12, v8
	s_wait_alu 0xf1ff
	v_cndmask_b32_e64 v0, 0, 1, s2
	v_cmp_lt_i32_e64 s0, 5, v27
	v_cmp_eq_u32_e64 s1, 3, v27
	s_delay_alu instid0(VALU_DEP_3) | instskip(NEXT) | instid1(VALU_DEP_2)
	v_or_b32_e32 v18, v18, v0
	s_or_b32 s0, s1, s0
	s_wait_alu 0xfffe
	v_add_co_ci_u32_e64 v1, s0, 0, v1, s0
	v_cmp_ne_u32_e64 s0, 0, v4
	v_and_or_b32 v15, 0x1ff, v16, v15
	s_wait_alu 0xf1ff
	s_delay_alu instid0(VALU_DEP_2) | instskip(SKIP_1) | instid1(VALU_DEP_3)
	v_cndmask_b32_e64 v4, 0, 1, s0
	v_cmp_gt_i32_e64 s0, 31, v13
	v_cmp_ne_u32_e64 s1, 0, v15
	s_delay_alu instid0(VALU_DEP_3) | instskip(SKIP_1) | instid1(VALU_DEP_3)
	v_lshl_or_b32 v4, v4, 9, 0x7c00
	s_wait_alu 0xf1ff
	v_cndmask_b32_e64 v20, 0x7c00, v1, s0
	v_mul_f64_e32 v[0:1], s[8:9], v[6:7]
	v_cmp_gt_i32_e64 s0, 1, v17
	s_wait_alu 0xf1ff
	s_delay_alu instid0(VALU_DEP_1) | instskip(SKIP_3) | instid1(VALU_DEP_4)
	v_cndmask_b32_e64 v6, v19, v18, s0
	v_lshrrev_b32_e32 v18, 16, v14
	v_cmp_eq_u32_e64 s0, 0x40f, v13
	v_lshrrev_b32_e32 v13, 16, v5
	v_and_b32_e32 v19, 7, v6
	s_wait_alu 0xf1ff
	s_delay_alu instid0(VALU_DEP_3) | instskip(SKIP_3) | instid1(VALU_DEP_3)
	v_cndmask_b32_e64 v7, v20, v4, s0
	v_add_co_u32 v4, s0, v10, s6
	s_wait_alu 0xf1ff
	v_add_co_ci_u32_e64 v5, s0, s7, v11, s0
	v_and_or_b32 v10, 0x8000, v13, v7
	v_cmp_lt_i32_e64 s0, 5, v19
	v_cndmask_b32_e64 v7, 0, 1, s1
	v_lshrrev_b32_e32 v11, 8, v16
	v_cmp_eq_u32_e64 s1, 3, v19
	v_lshrrev_b32_e32 v19, 2, v6
	v_bfe_u32 v13, v16, 20, 11
	v_and_b32_e32 v10, 0xffff, v10
	global_store_b32 v[4:5], v12, off
	s_or_b32 s0, s1, s0
	v_lshrrev_b32_e32 v16, 16, v16
	v_and_or_b32 v0, 0x1ff, v1, v0
	v_lshrrev_b32_e32 v27, 16, v1
	s_wait_loadcnt 0x4
	v_mul_f16_e32 v20, v23, v18
	s_wait_loadcnt 0x1
	s_delay_alu instid0(VALU_DEP_1) | instskip(SKIP_1) | instid1(VALU_DEP_2)
	v_fmac_f16_e32 v20, v25, v14
	v_mul_f16_e32 v14, v23, v14
	v_cvt_f32_f16_e32 v15, v20
	v_and_or_b32 v20, 0xffe, v11, v7
	v_sub_nc_u32_e32 v11, 0x3f1, v13
	s_delay_alu instid0(VALU_DEP_4)
	v_fma_f16 v14, v25, v18, -v14
	v_bfe_u32 v18, v1, 20, 11
	v_cvt_f64_f32_e32 v[6:7], v15
	s_wait_alu 0xfffe
	v_add_co_ci_u32_e64 v15, s0, 0, v19, s0
	v_cmp_ne_u32_e64 s0, 0, v8
	v_or_b32_e32 v19, 0x1000, v20
	v_med3_i32 v11, v11, 0, 13
	v_add_nc_u32_e32 v13, 0xfffffc10, v13
	s_wait_alu 0xf1ff
	v_cndmask_b32_e64 v8, 0, 1, s0
	v_cmp_gt_i32_e64 s0, 31, v17
	v_lshrrev_b32_e32 v23, v11, v19
	s_delay_alu instid0(VALU_DEP_3) | instskip(SKIP_1) | instid1(VALU_DEP_3)
	v_lshl_or_b32 v8, v8, 9, 0x7c00
	s_wait_alu 0xf1ff
	v_cndmask_b32_e64 v15, 0x7c00, v15, s0
	v_cmp_eq_u32_e64 s0, 0x40f, v17
	v_lshlrev_b32_e32 v11, v11, v23
	v_lshrrev_b32_e32 v17, 16, v9
	s_wait_alu 0xf1ff
	s_delay_alu instid0(VALU_DEP_3) | instskip(SKIP_3) | instid1(VALU_DEP_4)
	v_cndmask_b32_e64 v15, v15, v8, s0
	v_cmp_ne_u32_e64 s0, 0, v0
	v_cvt_f32_f16_e32 v8, v14
	v_lshrrev_b32_e32 v14, 8, v1
	v_and_or_b32 v15, 0x8000, v17, v15
	s_wait_alu 0xf1ff
	v_cndmask_b32_e64 v0, 0, 1, s0
	v_cmp_ne_u32_e64 s0, v11, v19
	v_lshl_or_b32 v17, v13, 12, v20
	v_cvt_f64_f32_e32 v[8:9], v8
	v_lshl_or_b32 v12, v15, 16, v10
	v_and_or_b32 v0, 0xffe, v14, v0
	s_wait_alu 0xf1ff
	v_cndmask_b32_e64 v11, 0, 1, s0
	v_sub_nc_u32_e32 v14, 0x3f1, v18
	v_cmp_gt_i32_e64 s0, 1, v13
	v_or_b32_e32 v19, 0x1000, v0
	s_delay_alu instid0(VALU_DEP_4) | instskip(NEXT) | instid1(VALU_DEP_4)
	v_or_b32_e32 v11, v23, v11
	v_med3_i32 v14, v14, 0, 13
	v_mul_f64_e32 v[6:7], s[8:9], v[6:7]
	s_wait_alu 0xf1ff
	s_delay_alu instid0(VALU_DEP_3) | instskip(NEXT) | instid1(VALU_DEP_3)
	v_cndmask_b32_e64 v17, v17, v11, s0
	v_lshrrev_b32_e32 v23, v14, v19
	v_add_co_u32 v4, s0, v4, s6
	v_add_nc_u32_e32 v11, 0x200, v70
	s_delay_alu instid0(VALU_DEP_4) | instskip(NEXT) | instid1(VALU_DEP_4)
	v_and_b32_e32 v15, 7, v17
	v_lshlrev_b32_e32 v14, v14, v23
	s_wait_alu 0xf1ff
	v_add_co_ci_u32_e64 v5, s0, s7, v5, s0
	ds_load_2addr_b32 v[10:11], v11 offset0:112 offset1:136
	v_cmp_lt_i32_e64 s0, 5, v15
	v_cmp_eq_u32_e64 s1, 3, v15
	v_lshrrev_b32_e32 v15, 2, v17
	v_cmp_ne_u32_e64 s2, v14, v19
	v_add_nc_u32_e32 v17, 0xfffffc10, v18
	global_store_b32 v[4:5], v12, off
	s_or_b32 s0, s1, s0
	s_wait_alu 0xfffe
	v_add_co_ci_u32_e64 v15, s0, 0, v15, s0
	v_cndmask_b32_e64 v14, 0, 1, s2
	v_cmp_ne_u32_e64 s0, 0, v20
	v_lshl_or_b32 v18, v17, 12, v0
	s_delay_alu instid0(VALU_DEP_3) | instskip(SKIP_1) | instid1(VALU_DEP_3)
	v_or_b32_e32 v14, v23, v14
	s_wait_alu 0xf1ff
	v_cndmask_b32_e64 v19, 0, 1, s0
	v_cmp_gt_i32_e64 s0, 1, v17
	v_mul_f64_e32 v[8:9], s[8:9], v[8:9]
	s_wait_dscnt 0x0
	v_lshrrev_b32_e32 v20, 16, v10
	s_wait_alu 0xf1ff
	v_cndmask_b32_e64 v14, v18, v14, s0
	v_cmp_gt_i32_e64 s0, 31, v13
	v_lshl_or_b32 v18, v19, 9, 0x7c00
	v_mul_f16_e32 v19, v30, v20
	v_and_or_b32 v6, 0x1ff, v7, v6
	v_and_b32_e32 v12, 7, v14
	s_wait_alu 0xf1ff
	v_cndmask_b32_e64 v15, 0x7c00, v15, s0
	v_cmp_eq_u32_e64 s0, 0x40f, v13
	v_lshrrev_b32_e32 v14, 2, v14
	v_fmac_f16_e32 v19, v29, v10
	v_cmp_eq_u32_e64 s1, 3, v12
	v_cmp_ne_u32_e64 s2, 0, v6
	s_wait_alu 0xf1ff
	v_cndmask_b32_e64 v18, v15, v18, s0
	v_cmp_lt_i32_e64 s0, 5, v12
	v_cvt_f32_f16_e32 v12, v19
	v_lshrrev_b32_e32 v15, 8, v7
	v_cndmask_b32_e64 v6, 0, 1, s2
	v_bfe_u32 v19, v7, 20, 11
	s_or_b32 s0, s1, s0
	v_mul_f16_e32 v10, v30, v10
	scratch_load_b32 v30, off, off offset:52 th:TH_LOAD_LU ; 4-byte Folded Reload
	s_wait_alu 0xfffe
	v_add_co_ci_u32_e64 v14, s0, 0, v14, s0
	v_cmp_gt_i32_e64 s0, 31, v17
	v_and_or_b32 v6, 0xffe, v15, v6
	v_sub_nc_u32_e32 v15, 0x3f1, v19
	v_cvt_f64_f32_e32 v[12:13], v12
	v_and_or_b32 v18, 0x8000, v16, v18
	s_wait_alu 0xf1ff
	v_cndmask_b32_e64 v23, 0x7c00, v14, s0
	v_cmp_ne_u32_e64 s0, 0, v0
	v_med3_i32 v26, v15, 0, 13
	s_wait_loadcnt 0x1
	v_mad_co_u64_u32 v[14:15], null, s4, v28, 0
	v_or_b32_e32 v25, 0x1000, v6
	s_wait_alu 0xf1ff
	v_cndmask_b32_e64 v0, 0, 1, s0
	v_cmp_eq_u32_e64 s0, 0x40f, v17
	v_and_or_b32 v8, 0x1ff, v9, v8
	v_lshrrev_b32_e32 v17, 8, v9
	v_lshrrev_b32_e32 v16, v26, v25
	v_lshl_or_b32 v0, v0, 9, 0x7c00
	v_add_nc_u32_e32 v19, 0xfffffc10, v19
	v_and_b32_e32 v18, 0xffff, v18
	v_lshrrev_b32_e32 v7, 16, v7
	s_wait_alu 0xf1ff
	v_cndmask_b32_e64 v23, v23, v0, s0
	v_mov_b32_e32 v0, v15
	v_cmp_ne_u32_e64 s0, 0, v8
	v_lshlrev_b32_e32 v15, v26, v16
	v_bfe_u32 v26, v9, 20, 11
	v_and_or_b32 v23, 0x8000, v27, v23
	v_mad_co_u64_u32 v[0:1], null, s5, v28, v[0:1]
	v_fma_f16 v1, v29, v20, -v10
	scratch_load_b32 v29, off, off offset:48 th:TH_LOAD_LU ; 4-byte Folded Reload
	s_wait_alu 0xf1ff
	v_cndmask_b32_e64 v8, 0, 1, s0
	v_sub_nc_u32_e32 v10, 0x3f1, v26
	v_cmp_ne_u32_e64 s0, v15, v25
	v_cvt_f32_f16_e32 v1, v1
	v_lshl_or_b32 v18, v23, 16, v18
	v_and_or_b32 v8, 0xffe, v17, v8
	v_med3_i32 v10, v10, 0, 13
	s_wait_alu 0xf1ff
	v_cndmask_b32_e64 v15, 0, 1, s0
	v_cmp_gt_i32_e64 s0, 1, v19
	v_add_nc_u32_e32 v23, 0xfffffc10, v26
	v_mul_f64_e32 v[12:13], s[8:9], v[12:13]
	v_or_b32_e32 v20, 0x1000, v8
	v_or_b32_e32 v15, v16, v15
	v_cvt_f64_f32_e32 v[16:17], v1
	v_lshl_or_b32 v1, v19, 12, v6
	v_cmp_gt_i32_e64 s2, 1, v23
	v_lshrrev_b32_e32 v25, v10, v20
	v_lshrrev_b32_e32 v26, 16, v11
	s_wait_alu 0xf1ff
	v_cndmask_b32_e64 v27, v1, v15, s0
	v_mov_b32_e32 v15, v0
	v_lshlrev_b32_e32 v1, v10, v25
	s_delay_alu instid0(VALU_DEP_3) | instskip(NEXT) | instid1(VALU_DEP_2)
	v_and_b32_e32 v10, 7, v27
	v_cmp_ne_u32_e64 s0, v1, v20
	s_delay_alu instid0(VALU_DEP_4) | instskip(SKIP_1) | instid1(VALU_DEP_4)
	v_lshlrev_b64_e32 v[0:1], 2, v[14:15]
	v_lshl_or_b32 v15, v23, 12, v8
	v_cmp_eq_u32_e64 s1, 3, v10
	s_wait_alu 0xf1ff
	v_cndmask_b32_e64 v20, 0, 1, s0
	v_cmp_lt_i32_e64 s0, 5, v10
	v_lshrrev_b32_e32 v10, 2, v27
	s_delay_alu instid0(VALU_DEP_3) | instskip(NEXT) | instid1(VALU_DEP_3)
	v_or_b32_e32 v14, v25, v20
	s_or_b32 s0, s1, s0
	s_wait_alu 0xfffe
	s_delay_alu instid0(VALU_DEP_2) | instskip(SKIP_3) | instid1(VALU_DEP_2)
	v_add_co_ci_u32_e64 v10, s0, 0, v10, s0
	v_cmp_ne_u32_e64 s0, 0, v6
	v_cndmask_b32_e64 v25, v15, v14, s2
	s_wait_alu 0xf1ff
	v_cndmask_b32_e64 v6, 0, 1, s0
	v_cmp_gt_i32_e64 s0, 31, v19
	v_and_or_b32 v12, 0x1ff, v13, v12
	v_and_b32_e32 v27, 7, v25
	s_delay_alu instid0(VALU_DEP_4)
	v_lshl_or_b32 v6, v6, 9, 0x7c00
	s_wait_alu 0xf1ff
	v_cndmask_b32_e64 v10, 0x7c00, v10, s0
	v_cmp_ne_u32_e64 s2, 0, v12
	v_cmp_lt_i32_e64 s0, 5, v27
	v_cmp_eq_u32_e64 s1, 3, v27
	v_mul_f64_e32 v[14:15], s[8:9], v[16:17]
	v_bfe_u32 v27, v13, 20, 11
	s_wait_alu 0xf1ff
	v_cndmask_b32_e64 v12, 0, 1, s2
	v_cmp_eq_u32_e64 s2, 0x40f, v19
	s_or_b32 s0, s1, s0
	v_sub_nc_u32_e32 v19, 0x3f1, v27
	s_delay_alu instid0(VALU_DEP_2) | instskip(SKIP_1) | instid1(VALU_DEP_3)
	v_cndmask_b32_e64 v6, v10, v6, s2
	v_lshrrev_b32_e32 v10, 2, v25
	v_med3_i32 v19, v19, 0, 13
	s_delay_alu instid0(VALU_DEP_3) | instskip(SKIP_1) | instid1(VALU_DEP_3)
	v_and_or_b32 v28, 0x8000, v7, v6
	s_wait_alu 0xfffe
	v_add_co_ci_u32_e64 v10, s0, 0, v10, s0
	v_cmp_ne_u32_e64 s0, 0, v8
	s_wait_alu 0xf1ff
	s_delay_alu instid0(VALU_DEP_1) | instskip(SKIP_1) | instid1(VALU_DEP_2)
	v_cndmask_b32_e64 v8, 0, 1, s0
	v_cmp_gt_i32_e64 s0, 31, v23
	v_lshl_or_b32 v8, v8, 9, 0x7c00
	s_wait_alu 0xf1ff
	s_delay_alu instid0(VALU_DEP_2)
	v_cndmask_b32_e64 v10, 0x7c00, v10, s0
	v_add_co_u32 v0, s0, v2, v0
	s_wait_alu 0xf1ff
	v_add_co_ci_u32_e64 v1, s0, v3, v1, s0
	v_cmp_eq_u32_e64 s0, 0x40f, v23
	v_lshrrev_b32_e32 v23, 16, v9
	global_store_b32 v[0:1], v18, off
	v_add_co_u32 v0, s2, v4, s10
	s_wait_alu 0xf1ff
	v_add_co_ci_u32_e64 v1, s2, s11, v5, s2
	s_wait_loadcnt 0x1
	v_mul_f16_e32 v20, v30, v26
	v_mul_f16_e32 v7, v30, v11
	scratch_load_b32 v30, off, off offset:40 th:TH_LOAD_LU ; 4-byte Folded Reload
	s_wait_loadcnt 0x1
	v_fmac_f16_e32 v20, v29, v11
	v_fma_f16 v9, v29, v26, -v7
	scratch_load_b32 v29, off, off offset:36 th:TH_LOAD_LU ; 4-byte Folded Reload
	v_bfe_u32 v26, v15, 20, 11
	v_cvt_f32_f16_e32 v20, v20
	s_delay_alu instid0(VALU_DEP_1) | instskip(SKIP_1) | instid1(VALU_DEP_1)
	v_cvt_f64_f32_e32 v[16:17], v20
	v_lshrrev_b32_e32 v20, 8, v13
	v_and_or_b32 v12, 0xffe, v20, v12
	s_delay_alu instid0(VALU_DEP_1) | instskip(NEXT) | instid1(VALU_DEP_1)
	v_or_b32_e32 v20, 0x1000, v12
	v_lshrrev_b32_e32 v25, v19, v20
	s_delay_alu instid0(VALU_DEP_1) | instskip(SKIP_2) | instid1(VALU_DEP_3)
	v_lshlrev_b32_e32 v6, v19, v25
	v_cndmask_b32_e64 v19, v10, v8, s0
	v_and_or_b32 v10, 0x1ff, v15, v14
	v_cmp_ne_u32_e64 s0, v6, v20
	v_add_nc_u32_e32 v20, 0xfffffc10, v27
	s_delay_alu instid0(VALU_DEP_4)
	v_and_or_b32 v19, 0x8000, v23, v19
	v_and_b32_e32 v23, 0xffff, v28
	s_wait_alu 0xf1ff
	v_cndmask_b32_e64 v8, 0, 1, s0
	v_cmp_ne_u32_e64 s0, 0, v10
	ds_load_2addr_b32 v[10:11], v24 offset0:32 offset1:56
	v_lshl_or_b32 v18, v19, 16, v23
	v_add_nc_u32_e32 v23, 0xfffffc10, v26
	v_or_b32_e32 v14, v25, v8
	v_lshrrev_b32_e32 v25, 8, v15
	v_mul_f64_e32 v[6:7], s[8:9], v[16:17]
	v_lshl_or_b32 v16, v20, 12, v12
	s_wait_alu 0xf1ff
	v_cndmask_b32_e64 v17, 0, 1, s0
	v_cmp_gt_i32_e64 s0, 1, v20
	v_cvt_f32_f16_e32 v8, v9
	v_lshrrev_b32_e32 v15, 16, v15
	global_store_b32 v[0:1], v18, off
	s_wait_alu 0xf1ff
	v_cndmask_b32_e64 v14, v16, v14, s0
	v_and_or_b32 v16, 0xffe, v25, v17
	v_sub_nc_u32_e32 v17, 0x3f1, v26
	v_cvt_f64_f32_e32 v[8:9], v8
	s_delay_alu instid0(VALU_DEP_4) | instskip(NEXT) | instid1(VALU_DEP_4)
	v_and_b32_e32 v25, 7, v14
	v_or_b32_e32 v27, 0x1000, v16
	s_delay_alu instid0(VALU_DEP_4)
	v_med3_i32 v17, v17, 0, 13
	v_lshrrev_b32_e32 v4, 2, v14
	s_wait_dscnt 0x0
	v_lshrrev_b32_e32 v14, 16, v10
	v_cmp_lt_i32_e64 s0, 5, v25
	v_cmp_eq_u32_e64 s1, 3, v25
	v_lshrrev_b32_e32 v19, v17, v27
	v_lshl_or_b32 v25, v23, 12, v16
	s_delay_alu instid0(VALU_DEP_3) | instskip(NEXT) | instid1(VALU_DEP_2)
	s_or_b32 s0, s1, s0
	v_lshlrev_b32_e32 v5, v17, v19
	s_wait_alu 0xfffe
	v_add_co_ci_u32_e64 v17, s0, 0, v4, s0
	s_delay_alu instid0(VALU_DEP_2) | instskip(SKIP_1) | instid1(VALU_DEP_1)
	v_cmp_ne_u32_e64 s0, v5, v27
	s_wait_alu 0xf1ff
	v_cndmask_b32_e64 v5, 0, 1, s0
	v_cmp_ne_u32_e64 s0, 0, v12
	v_and_or_b32 v6, 0x1ff, v7, v6
	v_lshrrev_b32_e32 v27, 8, v7
	s_delay_alu instid0(VALU_DEP_4)
	v_or_b32_e32 v19, v19, v5
	s_wait_alu 0xf1ff
	v_cndmask_b32_e64 v12, 0, 1, s0
	v_bfe_u32 v28, v7, 20, 11
	v_cmp_ne_u32_e64 s0, 0, v6
	v_lshrrev_b32_e32 v7, 16, v7
	s_delay_alu instid0(VALU_DEP_4) | instskip(SKIP_1) | instid1(VALU_DEP_3)
	v_lshl_or_b32 v12, v12, 9, 0x7c00
	s_wait_alu 0xf1ff
	v_cndmask_b32_e64 v6, 0, 1, s0
	v_cmp_gt_i32_e64 s0, 1, v23
	s_delay_alu instid0(VALU_DEP_2) | instskip(SKIP_1) | instid1(VALU_DEP_2)
	v_and_or_b32 v6, 0xffe, v27, v6
	s_wait_alu 0xf1ff
	v_cndmask_b32_e64 v19, v25, v19, s0
	v_cmp_gt_i32_e64 s0, 31, v20
	v_sub_nc_u32_e32 v25, 0x3f1, v28
	v_or_b32_e32 v27, 0x1000, v6
	s_wait_alu 0xf1ff
	s_delay_alu instid0(VALU_DEP_3) | instskip(SKIP_3) | instid1(VALU_DEP_2)
	v_cndmask_b32_e64 v17, 0x7c00, v17, s0
	v_cmp_eq_u32_e64 s0, 0x40f, v20
	v_med3_i32 v25, v25, 0, 13
	s_wait_alu 0xf1ff
	v_cndmask_b32_e64 v17, v17, v12, s0
	v_lshrrev_b32_e32 v12, 2, v19
	s_delay_alu instid0(VALU_DEP_3) | instskip(SKIP_3) | instid1(VALU_DEP_1)
	v_lshrrev_b32_e32 v20, v25, v27
	s_wait_loadcnt 0x1
	v_mul_f16_e32 v4, v30, v14
	s_wait_loadcnt 0x0
	v_fmac_f16_e32 v4, v29, v10
	v_mul_f16_e32 v10, v30, v10
	scratch_load_b32 v30, off, off offset:24 th:TH_LOAD_LU ; 4-byte Folded Reload
	v_cvt_f32_f16_e32 v26, v4
	v_mul_f64_e32 v[4:5], s[8:9], v[8:9]
	v_fma_f16 v10, v29, v14, -v10
	s_delay_alu instid0(VALU_DEP_3) | instskip(SKIP_1) | instid1(VALU_DEP_3)
	v_cvt_f64_f32_e32 v[8:9], v26
	v_and_b32_e32 v26, 7, v19
	v_cvt_f32_f16_e32 v10, v10
	s_delay_alu instid0(VALU_DEP_2) | instskip(SKIP_3) | instid1(VALU_DEP_3)
	v_cmp_lt_i32_e64 s0, 5, v26
	v_cmp_eq_u32_e64 s1, 3, v26
	v_lshrrev_b32_e32 v26, 16, v13
	v_lshlrev_b32_e32 v13, v25, v20
	s_or_b32 s0, s1, s0
	s_delay_alu instid0(VALU_DEP_2) | instskip(SKIP_4) | instid1(VALU_DEP_1)
	v_and_or_b32 v17, 0x8000, v26, v17
	s_wait_alu 0xfffe
	v_add_co_ci_u32_e64 v14, s0, 0, v12, s0
	v_cmp_ne_u32_e64 s0, 0, v16
	s_wait_alu 0xf1ff
	v_cndmask_b32_e64 v16, 0, 1, s0
	v_cmp_ne_u32_e64 s0, v13, v27
	v_cvt_f64_f32_e32 v[12:13], v10
	v_add_nc_u32_e32 v10, 0xfffffc10, v28
	s_clause 0x1
	scratch_load_b32 v28, off, off offset:32 th:TH_LOAD_LU
	scratch_load_b32 v27, off, off offset:28 th:TH_LOAD_LU
	s_wait_alu 0xf1ff
	v_cndmask_b32_e64 v19, 0, 1, s0
	v_cmp_gt_i32_e64 s0, 31, v23
	v_lshl_or_b32 v16, v16, 9, 0x7c00
	s_delay_alu instid0(VALU_DEP_3) | instskip(SKIP_1) | instid1(VALU_DEP_3)
	v_or_b32_e32 v19, v20, v19
	s_wait_alu 0xf1ff
	v_cndmask_b32_e64 v14, 0x7c00, v14, s0
	v_cmp_eq_u32_e64 s0, 0x40f, v23
	v_lshl_or_b32 v20, v10, 12, v6
	v_and_or_b32 v4, 0x1ff, v5, v4
	v_mul_f64_e32 v[8:9], s[8:9], v[8:9]
	s_wait_alu 0xf1ff
	v_cndmask_b32_e64 v14, v14, v16, s0
	v_cmp_gt_i32_e64 s0, 1, v10
	s_delay_alu instid0(VALU_DEP_2) | instskip(SKIP_1) | instid1(VALU_DEP_2)
	v_and_or_b32 v14, 0x8000, v15, v14
	s_wait_alu 0xf1ff
	v_cndmask_b32_e64 v16, v20, v19, s0
	v_cmp_ne_u32_e64 s0, 0, v4
	v_lshrrev_b32_e32 v19, 8, v5
	v_bfe_u32 v20, v5, 20, 11
	v_and_b32_e32 v15, 0xffff, v17
	v_and_b32_e32 v23, 7, v16
	s_wait_alu 0xf1ff
	v_cndmask_b32_e64 v4, 0, 1, s0
	v_lshrrev_b32_e32 v16, 2, v16
	v_lshl_or_b32 v18, v14, 16, v15
	v_cmp_lt_i32_e64 s0, 5, v23
	v_cmp_eq_u32_e64 s1, 3, v23
	v_and_or_b32 v4, 0xffe, v19, v4
	v_sub_nc_u32_e32 v19, 0x3f1, v20
	s_delay_alu instid0(VALU_DEP_3) | instskip(NEXT) | instid1(VALU_DEP_2)
	s_or_b32 s0, s1, s0
	v_or_b32_e32 v17, 0x1000, v4
	s_delay_alu instid0(VALU_DEP_2)
	v_med3_i32 v19, v19, 0, 13
	s_wait_alu 0xfffe
	v_add_co_ci_u32_e64 v15, s0, 0, v16, s0
	v_cmp_ne_u32_e64 s0, 0, v6
	v_mul_f64_e32 v[12:13], s[8:9], v[12:13]
	v_lshrrev_b32_e32 v14, v19, v17
	s_wait_alu 0xf1ff
	s_delay_alu instid0(VALU_DEP_3)
	v_cndmask_b32_e64 v6, 0, 1, s0
	v_add_co_u32 v0, s0, v0, s6
	s_wait_alu 0xf1ff
	v_add_co_ci_u32_e64 v1, s0, s7, v1, s0
	v_lshlrev_b32_e32 v16, v19, v14
	v_cmp_gt_i32_e64 s0, 31, v10
	v_lshl_or_b32 v6, v6, 9, 0x7c00
	v_and_or_b32 v8, 0x1ff, v9, v8
	v_bfe_u32 v19, v9, 20, 11
	s_wait_alu 0xf1ff
	v_cndmask_b32_e64 v15, 0x7c00, v15, s0
	v_cmp_ne_u32_e64 s0, v16, v17
	v_add_nc_u32_e32 v17, 0xfffffc10, v20
	s_wait_alu 0xf1ff
	s_delay_alu instid0(VALU_DEP_2) | instskip(SKIP_1) | instid1(VALU_DEP_2)
	v_cndmask_b32_e64 v16, 0, 1, s0
	v_cmp_eq_u32_e64 s0, 0x40f, v10
	v_or_b32_e32 v10, v14, v16
	s_wait_alu 0xf1ff
	s_delay_alu instid0(VALU_DEP_2)
	v_cndmask_b32_e64 v6, v15, v6, s0
	v_cmp_ne_u32_e64 s0, 0, v8
	v_lshl_or_b32 v14, v17, 12, v4
	v_lshrrev_b32_e32 v15, 16, v11
	v_lshrrev_b32_e32 v16, 8, v9
	v_and_or_b32 v23, 0x8000, v7, v6
	s_wait_alu 0xf1ff
	v_cndmask_b32_e64 v8, 0, 1, s0
	v_cmp_gt_i32_e64 s0, 1, v17
	v_lshrrev_b32_e32 v9, 16, v9
	v_and_b32_e32 v23, 0xffff, v23
	s_delay_alu instid0(VALU_DEP_4)
	v_and_or_b32 v8, 0xffe, v16, v8
	s_wait_alu 0xf1ff
	v_cndmask_b32_e64 v10, v14, v10, s0
	v_sub_nc_u32_e32 v14, 0x3f1, v19
	v_and_or_b32 v12, 0x1ff, v13, v12
	v_bfe_u32 v26, v13, 20, 11
	v_or_b32_e32 v25, 0x1000, v8
	v_and_b32_e32 v16, 7, v10
	v_med3_i32 v14, v14, 0, 13
	v_lshrrev_b32_e32 v10, 2, v10
	v_add_nc_u32_e32 v19, 0xfffffc10, v19
	s_delay_alu instid0(VALU_DEP_4) | instskip(SKIP_2) | instid1(VALU_DEP_2)
	v_cmp_lt_i32_e64 s0, 5, v16
	v_cmp_eq_u32_e64 s1, 3, v16
	v_lshrrev_b32_e32 v16, v14, v25
	s_or_b32 s0, s1, s0
	s_delay_alu instid0(VALU_DEP_1) | instskip(SKIP_4) | instid1(VALU_DEP_1)
	v_lshlrev_b32_e32 v14, v14, v16
	s_wait_alu 0xfffe
	v_add_co_ci_u32_e64 v10, s0, 0, v10, s0
	v_cmp_ne_u32_e64 s0, 0, v12
	s_wait_alu 0xf1ff
	v_cndmask_b32_e64 v12, 0, 1, s0
	v_cmp_ne_u32_e64 s0, v14, v25
	s_wait_alu 0xf1ff
	s_delay_alu instid0(VALU_DEP_1) | instskip(SKIP_1) | instid1(VALU_DEP_2)
	v_cndmask_b32_e64 v14, 0, 1, s0
	v_cmp_ne_u32_e64 s0, 0, v4
	v_or_b32_e32 v14, v16, v14
	v_lshl_or_b32 v16, v19, 12, v8
	s_wait_alu 0xf1ff
	s_delay_alu instid0(VALU_DEP_3) | instskip(SKIP_1) | instid1(VALU_DEP_2)
	v_cndmask_b32_e64 v4, 0, 1, s0
	v_cmp_gt_i32_e64 s0, 1, v19
	v_lshl_or_b32 v4, v4, 9, 0x7c00
	s_wait_alu 0xf1ff
	s_delay_alu instid0(VALU_DEP_2) | instskip(SKIP_1) | instid1(VALU_DEP_2)
	v_cndmask_b32_e64 v16, v16, v14, s0
	v_cmp_gt_i32_e64 s0, 31, v17
	v_and_b32_e32 v29, 7, v16
	v_lshrrev_b32_e32 v16, 2, v16
	s_wait_loadcnt 0x1
	v_mul_f16_e32 v20, v28, v15
	s_wait_loadcnt 0x0
	s_delay_alu instid0(VALU_DEP_1)
	v_fmac_f16_e32 v20, v27, v11
	v_mul_f16_e32 v11, v28, v11
	s_wait_alu 0xf1ff
	v_cndmask_b32_e64 v28, 0x7c00, v10, s0
	v_cmp_eq_u32_e64 s0, 0x40f, v17
	v_cvt_f32_f16_e32 v6, v20
	v_lshrrev_b32_e32 v20, 8, v13
	v_fma_f16 v11, v27, v15, -v11
	s_wait_alu 0xf1ff
	v_cndmask_b32_e64 v17, v28, v4, s0
	v_lshrrev_b32_e32 v28, 16, v5
	v_cvt_f64_f32_e32 v[6:7], v6
	v_and_or_b32 v12, 0xffe, v20, v12
	v_sub_nc_u32_e32 v20, 0x3f1, v26
	v_cmp_lt_i32_e64 s0, 5, v29
	v_cvt_f32_f16_e32 v11, v11
	ds_load_2addr_b32 v[14:15], v24 offset0:80 offset1:104
	v_or_b32_e32 v25, 0x1000, v12
	v_med3_i32 v20, v20, 0, 13
	v_cvt_f64_f32_e32 v[10:11], v11
	s_delay_alu instid0(VALU_DEP_2) | instskip(NEXT) | instid1(VALU_DEP_1)
	v_lshrrev_b32_e32 v27, v20, v25
	v_lshlrev_b32_e32 v20, v20, v27
	s_delay_alu instid0(VALU_DEP_1) | instskip(SKIP_3) | instid1(VALU_DEP_3)
	v_cmp_ne_u32_e64 s1, v20, v25
	v_add_nc_u32_e32 v20, 0xfffffc10, v26
	v_mul_f64_e32 v[4:5], s[8:9], v[6:7]
	s_wait_alu 0xf1ff
	v_cndmask_b32_e64 v6, 0, 1, s1
	v_cmp_eq_u32_e64 s1, 3, v29
	scratch_load_b32 v29, off, off offset:20 th:TH_LOAD_LU ; 4-byte Folded Reload
	v_and_or_b32 v7, 0x8000, v28, v17
	scratch_load_b32 v28, off, off offset:12 th:TH_LOAD_LU ; 4-byte Folded Reload
	v_or_b32_e32 v6, v27, v6
	s_or_b32 s0, s1, s0
	v_lshl_or_b32 v17, v20, 12, v12
	s_wait_alu 0xfffe
	v_add_co_ci_u32_e64 v16, s0, 0, v16, s0
	v_cmp_ne_u32_e64 s0, 0, v8
	s_wait_alu 0xf1ff
	s_delay_alu instid0(VALU_DEP_1) | instskip(SKIP_1) | instid1(VALU_DEP_2)
	v_cndmask_b32_e64 v8, 0, 1, s0
	v_cmp_gt_i32_e64 s0, 1, v20
	v_lshl_or_b32 v8, v8, 9, 0x7c00
	s_wait_alu 0xf1ff
	s_delay_alu instid0(VALU_DEP_2) | instskip(SKIP_3) | instid1(VALU_DEP_3)
	v_cndmask_b32_e64 v6, v17, v6, s0
	v_cmp_gt_i32_e64 s0, 31, v19
	s_wait_dscnt 0x0
	v_lshrrev_b32_e32 v17, 16, v14
	v_and_b32_e32 v25, 7, v6
	s_wait_alu 0xf1ff
	v_cndmask_b32_e64 v16, 0x7c00, v16, s0
	v_cmp_eq_u32_e64 s0, 0x40f, v19
	v_mul_f16_e32 v26, v30, v17
	v_cmp_eq_u32_e64 s1, 3, v25
	s_wait_alu 0xf1ff
	s_delay_alu instid0(VALU_DEP_3) | instskip(SKIP_3) | instid1(VALU_DEP_4)
	v_cndmask_b32_e64 v8, v16, v8, s0
	v_cmp_lt_i32_e64 s0, 5, v25
	v_lshl_or_b32 v16, v7, 16, v23
	v_and_or_b32 v4, 0x1ff, v5, v4
	v_and_or_b32 v19, 0x8000, v9, v8
	v_lshrrev_b32_e32 v8, 2, v6
	s_or_b32 s0, s1, s0
	v_mul_f64_e32 v[6:7], s[8:9], v[10:11]
	v_bfe_u32 v27, v5, 20, 11
	v_and_b32_e32 v19, 0xffff, v19
	s_wait_alu 0xfffe
	v_add_co_ci_u32_e64 v10, s0, 0, v8, s0
	v_cmp_ne_u32_e64 s0, 0, v12
	s_wait_alu 0xf1ff
	s_delay_alu instid0(VALU_DEP_1) | instskip(SKIP_1) | instid1(VALU_DEP_2)
	v_cndmask_b32_e64 v12, 0, 1, s0
	v_cmp_gt_i32_e64 s0, 31, v20
	v_lshl_or_b32 v12, v12, 9, 0x7c00
	s_wait_alu 0xf1ff
	s_delay_alu instid0(VALU_DEP_2) | instskip(SKIP_2) | instid1(VALU_DEP_1)
	v_cndmask_b32_e64 v23, 0x7c00, v10, s0
	v_cmp_ne_u32_e64 s0, 0, v4
	s_wait_alu 0xf1ff
	v_cndmask_b32_e64 v25, 0, 1, s0
	v_cmp_eq_u32_e64 s0, 0x40f, v20
	s_wait_alu 0xf1ff
	s_delay_alu instid0(VALU_DEP_1)
	v_cndmask_b32_e64 v20, v23, v12, s0
	v_and_or_b32 v6, 0x1ff, v7, v6
	s_wait_loadcnt 0x1
	v_fmac_f16_e32 v26, v29, v14
	s_wait_loadcnt 0x0
	v_mad_co_u64_u32 v[10:11], null, s4, v28, 0
	s_delay_alu instid0(VALU_DEP_2) | instskip(SKIP_1) | instid1(VALU_DEP_3)
	v_cvt_f32_f16_e32 v9, v26
	v_lshrrev_b32_e32 v26, 8, v5
	v_mov_b32_e32 v4, v11
	s_delay_alu instid0(VALU_DEP_2)
	v_and_or_b32 v23, 0xffe, v26, v25
	v_sub_nc_u32_e32 v25, 0x3f1, v27
	v_lshrrev_b32_e32 v26, 16, v13
	v_cvt_f64_f32_e32 v[8:9], v9
	v_mad_co_u64_u32 v[11:12], null, s5, v28, v[4:5]
	v_or_b32_e32 v4, 0x1000, v23
	v_med3_i32 v25, v25, 0, 13
	v_add_co_u32 v12, s0, v0, s6
	v_and_or_b32 v20, 0x8000, v26, v20
	s_wait_alu 0xf1ff
	v_add_co_ci_u32_e64 v13, s0, s7, v1, s0
	v_lshrrev_b32_e32 v26, v25, v4
	global_store_b32 v[0:1], v18, off
	global_store_b32 v[12:13], v16, off
	v_lshlrev_b64_e32 v[0:1], 2, v[10:11]
	v_mul_f16_e32 v10, v30, v14
	v_lshlrev_b32_e32 v16, v25, v26
	v_add_nc_u32_e32 v14, 0xfffffc10, v27
	scratch_load_b32 v27, off, off offset:16 th:TH_LOAD_LU ; 4-byte Folded Reload
	v_lshl_or_b32 v18, v20, 16, v19
	v_fma_f16 v10, v29, v17, -v10
	v_cmp_ne_u32_e64 s0, v16, v4
	v_lshl_or_b32 v17, v14, 12, v23
	scratch_load_b32 v28, off, off offset:4 th:TH_LOAD_LU ; 4-byte Folded Reload
	v_lshrrev_b32_e32 v11, 8, v7
	v_bfe_u32 v16, v7, 20, 11
	s_wait_alu 0xf1ff
	v_cndmask_b32_e64 v4, 0, 1, s0
	v_cmp_ne_u32_e64 s0, 0, v6
	v_cvt_f32_f16_e32 v10, v10
	v_lshrrev_b32_e32 v7, 16, v7
	v_sub_nc_u32_e32 v19, 0x3f1, v16
	v_or_b32_e32 v4, v26, v4
	s_wait_alu 0xf1ff
	v_cndmask_b32_e64 v6, 0, 1, s0
	v_cmp_gt_i32_e64 s0, 1, v14
	v_lshrrev_b32_e32 v26, 16, v15
	v_med3_i32 v19, v19, 0, 13
	v_add_nc_u32_e32 v16, 0xfffffc10, v16
	v_and_or_b32 v6, 0xffe, v11, v6
	s_wait_alu 0xf1ff
	v_cndmask_b32_e64 v4, v17, v4, s0
	v_add_co_u32 v0, s0, v2, v0
	s_wait_alu 0xf1ff
	v_add_co_ci_u32_e64 v1, s0, v3, v1, s0
	s_delay_alu instid0(VALU_DEP_3)
	v_and_b32_e32 v25, 7, v4
	v_mul_f64_e32 v[8:9], s[8:9], v[8:9]
	v_cvt_f64_f32_e32 v[10:11], v10
	global_store_b32 v[0:1], v18, off
	v_or_b32_e32 v17, 0x1000, v6
	v_cmp_lt_i32_e64 s0, 5, v25
	v_cmp_eq_u32_e64 s1, 3, v25
	scratch_load_b32 v25, off, off offset:8 th:TH_LOAD_LU ; 4-byte Folded Reload
	v_lshrrev_b32_e32 v4, 2, v4
	v_lshrrev_b32_e32 v20, v19, v17
	s_or_b32 s0, s1, s0
	s_wait_alu 0xfffe
	s_delay_alu instid0(VALU_DEP_2) | instskip(NEXT) | instid1(VALU_DEP_2)
	v_add_co_ci_u32_e64 v4, s0, 0, v4, s0
	v_lshlrev_b32_e32 v0, v19, v20
	v_cmp_ne_u32_e64 s0, 0, v23
	s_delay_alu instid0(VALU_DEP_2) | instskip(SKIP_2) | instid1(VALU_DEP_3)
	v_cmp_ne_u32_e64 s2, v0, v17
	v_lshl_or_b32 v17, v16, 12, v6
	s_wait_alu 0xf1ff
	v_cndmask_b32_e64 v18, 0, 1, s0
	v_cmp_gt_i32_e64 s0, 1, v16
	v_cndmask_b32_e64 v0, 0, 1, s2
	v_cmp_eq_u32_e64 s2, 0x40f, v14
	s_delay_alu instid0(VALU_DEP_4) | instskip(NEXT) | instid1(VALU_DEP_3)
	v_lshl_or_b32 v18, v18, 9, 0x7c00
	v_or_b32_e32 v0, v20, v0
	s_wait_alu 0xf1ff
	s_delay_alu instid0(VALU_DEP_1)
	v_cndmask_b32_e64 v17, v17, v0, s0
	v_and_or_b32 v8, 0x1ff, v9, v8
	v_mul_f64_e32 v[10:11], s[8:9], v[10:11]
	v_lshrrev_b32_e32 v19, 8, v9
	v_bfe_u32 v20, v9, 20, 11
	v_and_b32_e32 v23, 7, v17
	v_cmp_ne_u32_e64 s0, 0, v8
	s_delay_alu instid0(VALU_DEP_2) | instskip(SKIP_1) | instid1(VALU_DEP_2)
	v_cmp_eq_u32_e64 s1, 3, v23
	s_wait_alu 0xf1ff
	v_cndmask_b32_e64 v8, 0, 1, s0
	v_cmp_gt_i32_e64 s0, 31, v14
	s_delay_alu instid0(VALU_DEP_2) | instskip(SKIP_1) | instid1(VALU_DEP_2)
	v_and_or_b32 v8, 0xffe, v19, v8
	s_wait_alu 0xf1ff
	v_cndmask_b32_e64 v4, 0x7c00, v4, s0
	v_sub_nc_u32_e32 v19, 0x3f1, v20
	v_cmp_lt_i32_e64 s0, 5, v23
	v_or_b32_e32 v23, 0x1000, v8
	s_delay_alu instid0(VALU_DEP_4)
	v_cndmask_b32_e64 v14, v4, v18, s2
	v_lshrrev_b32_e32 v4, 2, v17
	v_med3_i32 v19, v19, 0, 13
	s_or_b32 s0, s1, s0
	v_lshrrev_b32_e32 v17, 16, v5
	s_wait_alu 0xfffe
	v_add_co_ci_u32_e64 v4, s0, 0, v4, s0
	v_lshrrev_b32_e32 v5, v19, v23
	v_cmp_ne_u32_e64 s0, 0, v6
	v_and_or_b32 v14, 0x8000, v17, v14
	s_delay_alu instid0(VALU_DEP_3) | instskip(SKIP_1) | instid1(VALU_DEP_3)
	v_lshlrev_b32_e32 v18, v19, v5
	s_wait_alu 0xf1ff
	v_cndmask_b32_e64 v6, 0, 1, s0
	v_cmp_gt_i32_e64 s0, 31, v16
	v_add_nc_u32_e32 v19, 0xfffffc10, v20
	ds_load_b32 v20, v70 offset:1536
	v_and_or_b32 v10, 0x1ff, v11, v10
	v_lshl_or_b32 v6, v6, 9, 0x7c00
	s_wait_alu 0xf1ff
	v_cndmask_b32_e64 v4, 0x7c00, v4, s0
	v_cmp_ne_u32_e64 s0, v18, v23
	v_and_b32_e32 v14, 0xffff, v14
	s_wait_alu 0xf1ff
	s_delay_alu instid0(VALU_DEP_2) | instskip(SKIP_3) | instid1(VALU_DEP_2)
	v_cndmask_b32_e64 v18, 0, 1, s0
	v_cmp_eq_u32_e64 s0, 0x40f, v16
	v_lshl_or_b32 v16, v19, 12, v8
	s_wait_alu 0xf1ff
	v_cndmask_b32_e64 v6, v4, v6, s0
	v_cmp_gt_i32_e64 s0, 1, v19
	s_delay_alu instid0(VALU_DEP_2)
	v_and_or_b32 v6, 0x8000, v7, v6
	s_wait_dscnt 0x0
	v_lshrrev_b32_e32 v17, 16, v20
	s_wait_loadcnt 0x2
	v_mul_f16_e32 v1, v27, v26
	s_wait_loadcnt 0x0
	s_delay_alu instid0(VALU_DEP_1)
	v_fmac_f16_e32 v1, v25, v15
	v_mul_f16_e32 v15, v27, v15
	scratch_load_b32 v27, off, off th:TH_LOAD_LU ; 4-byte Folded Reload
	v_cvt_f32_f16_e32 v1, v1
	v_fma_f16 v15, v25, v26, -v15
	v_lshl_or_b32 v26, v6, 16, v14
	v_mul_f16_e32 v25, v28, v17
	s_delay_alu instid0(VALU_DEP_4) | instskip(NEXT) | instid1(VALU_DEP_4)
	v_cvt_f64_f32_e32 v[0:1], v1
	v_cvt_f32_f16_e32 v4, v15
	v_or_b32_e32 v15, v5, v18
	v_bfe_u32 v18, v11, 20, 11
	s_delay_alu instid0(VALU_DEP_3) | instskip(SKIP_1) | instid1(VALU_DEP_3)
	v_cvt_f64_f32_e32 v[4:5], v4
	s_wait_alu 0xf1ff
	v_cndmask_b32_e64 v15, v16, v15, s0
	v_cmp_ne_u32_e64 s0, 0, v10
	v_lshrrev_b32_e32 v16, 8, v11
	v_lshrrev_b32_e32 v11, 16, v11
	s_delay_alu instid0(VALU_DEP_4) | instskip(SKIP_3) | instid1(VALU_DEP_3)
	v_and_b32_e32 v7, 7, v15
	s_wait_alu 0xf1ff
	v_cndmask_b32_e64 v10, 0, 1, s0
	v_lshrrev_b32_e32 v6, 2, v15
	v_cmp_lt_i32_e64 s0, 5, v7
	s_delay_alu instid0(VALU_DEP_3) | instskip(SKIP_3) | instid1(VALU_DEP_4)
	v_and_or_b32 v10, 0xffe, v16, v10
	v_sub_nc_u32_e32 v16, 0x3f1, v18
	v_cmp_eq_u32_e64 s1, 3, v7
	v_add_nc_u32_e32 v18, 0xfffffc10, v18
	v_or_b32_e32 v23, 0x1000, v10
	s_delay_alu instid0(VALU_DEP_4) | instskip(NEXT) | instid1(VALU_DEP_4)
	v_med3_i32 v16, v16, 0, 13
	s_or_b32 s0, s1, s0
	s_wait_alu 0xfffe
	v_add_co_ci_u32_e64 v6, s0, 0, v6, s0
	s_delay_alu instid0(VALU_DEP_2) | instskip(SKIP_1) | instid1(VALU_DEP_2)
	v_lshrrev_b32_e32 v14, v16, v23
	v_cmp_ne_u32_e64 s0, 0, v8
	v_lshlrev_b32_e32 v8, v16, v14
	s_wait_alu 0xf1ff
	s_delay_alu instid0(VALU_DEP_2) | instskip(SKIP_3) | instid1(VALU_DEP_2)
	v_cndmask_b32_e64 v7, 0, 1, s0
	v_cmp_gt_i32_e64 s0, 31, v19
	v_mul_f64_e32 v[0:1], s[8:9], v[0:1]
	s_wait_alu 0xf1ff
	v_cndmask_b32_e64 v16, 0x7c00, v6, s0
	v_cmp_ne_u32_e64 s0, v8, v23
	v_mul_f64_e32 v[4:5], s[8:9], v[4:5]
	s_wait_alu 0xf1ff
	s_delay_alu instid0(VALU_DEP_2) | instskip(NEXT) | instid1(VALU_DEP_1)
	v_cndmask_b32_e64 v8, 0, 1, s0
	v_or_b32_e32 v8, v14, v8
	v_lshl_or_b32 v14, v18, 12, v10
	v_and_or_b32 v0, 0x1ff, v1, v0
	v_bfe_u32 v23, v1, 20, 11
	s_delay_alu instid0(VALU_DEP_2) | instskip(SKIP_2) | instid1(VALU_DEP_2)
	v_cmp_ne_u32_e64 s0, 0, v0
	v_and_or_b32 v4, 0x1ff, v5, v4
	s_wait_alu 0xf1ff
	v_cndmask_b32_e64 v0, 0, 1, s0
	v_cmp_gt_i32_e64 s0, 1, v18
	s_wait_loadcnt 0x0
	v_fmac_f16_e32 v25, v27, v20
	s_delay_alu instid0(VALU_DEP_1) | instskip(SKIP_1) | instid1(VALU_DEP_2)
	v_cvt_f32_f16_e32 v15, v25
	v_lshl_or_b32 v25, v7, 9, 0x7c00
	v_cvt_f64_f32_e32 v[6:7], v15
	v_mul_f16_e32 v15, v28, v20
	v_lshrrev_b32_e32 v20, 8, v1
	v_lshrrev_b32_e32 v1, 16, v1
	s_delay_alu instid0(VALU_DEP_3) | instskip(NEXT) | instid1(VALU_DEP_3)
	v_fma_f16 v15, v27, v17, -v15
	v_and_or_b32 v0, 0xffe, v20, v0
	v_sub_nc_u32_e32 v17, 0x3f1, v23
	s_wait_alu 0xf1ff
	v_cndmask_b32_e64 v20, v14, v8, s0
	v_cmp_eq_u32_e64 s0, 0x40f, v19
	v_cvt_f32_f16_e32 v15, v15
	v_or_b32_e32 v27, 0x1000, v0
	v_med3_i32 v17, v17, 0, 13
	v_lshrrev_b32_e32 v19, 16, v9
	s_wait_alu 0xf1ff
	v_cndmask_b32_e64 v16, v16, v25, s0
	v_and_b32_e32 v25, 7, v20
	v_cvt_f64_f32_e32 v[14:15], v15
	v_lshrrev_b32_e32 v28, v17, v27
	v_add_co_u32 v8, s0, v12, s10
	s_wait_alu 0xf1ff
	v_add_co_ci_u32_e64 v9, s0, s11, v13, s0
	s_delay_alu instid0(VALU_DEP_3)
	v_lshlrev_b32_e32 v12, v17, v28
	v_cmp_lt_i32_e64 s0, 5, v25
	v_cmp_eq_u32_e64 s1, 3, v25
	v_lshrrev_b32_e32 v13, 2, v20
	v_add_nc_u32_e32 v17, 0xfffffc10, v23
	v_cmp_ne_u32_e64 s2, v12, v27
	v_and_or_b32 v16, 0x8000, v19, v16
	s_or_b32 s0, s1, s0
	v_bfe_u32 v20, v5, 20, 11
	s_wait_alu 0xfffe
	v_add_co_ci_u32_e64 v13, s0, 0, v13, s0
	v_cndmask_b32_e64 v12, 0, 1, s2
	v_cmp_ne_u32_e64 s0, 0, v10
	v_lshl_or_b32 v19, v17, 12, v0
	v_sub_nc_u32_e32 v27, 0x3f1, v20
	v_mul_f64_e32 v[6:7], s[8:9], v[6:7]
	v_or_b32_e32 v12, v28, v12
	s_wait_alu 0xf1ff
	v_cndmask_b32_e64 v10, 0, 1, s0
	v_cmp_gt_i32_e64 s0, 1, v17
	v_and_b32_e32 v16, 0xffff, v16
	s_delay_alu instid0(VALU_DEP_3) | instskip(SKIP_1) | instid1(VALU_DEP_3)
	v_lshl_or_b32 v10, v10, 9, 0x7c00
	s_wait_alu 0xf1ff
	v_cndmask_b32_e64 v19, v19, v12, s0
	v_cmp_ne_u32_e64 s0, 0, v4
	v_lshrrev_b32_e32 v12, 8, v5
	s_delay_alu instid0(VALU_DEP_3) | instskip(SKIP_1) | instid1(VALU_DEP_3)
	v_and_b32_e32 v25, 7, v19
	s_wait_alu 0xf1ff
	v_cndmask_b32_e64 v4, 0, 1, s0
	v_cmp_gt_i32_e64 s0, 31, v18
	s_delay_alu instid0(VALU_DEP_3) | instskip(NEXT) | instid1(VALU_DEP_3)
	v_cmp_eq_u32_e64 s1, 3, v25
	v_and_or_b32 v4, 0xffe, v12, v4
	s_wait_alu 0xf1ff
	s_delay_alu instid0(VALU_DEP_3)
	v_cndmask_b32_e64 v23, 0x7c00, v13, s0
	v_cmp_eq_u32_e64 s0, 0x40f, v18
	v_mul_f64_e32 v[12:13], s[8:9], v[14:15]
	v_med3_i32 v15, v27, 0, 13
	v_or_b32_e32 v14, 0x1000, v4
	s_wait_alu 0xf1ff
	v_cndmask_b32_e64 v10, v23, v10, s0
	v_cmp_lt_i32_e64 s0, 5, v25
	s_delay_alu instid0(VALU_DEP_3) | instskip(NEXT) | instid1(VALU_DEP_3)
	v_lshrrev_b32_e32 v18, v15, v14
	v_and_or_b32 v10, 0x8000, v11, v10
	v_lshrrev_b32_e32 v11, 2, v19
	s_delay_alu instid0(VALU_DEP_4) | instskip(NEXT) | instid1(VALU_DEP_3)
	s_or_b32 s0, s1, s0
	v_lshlrev_b32_e32 v15, v15, v18
	s_delay_alu instid0(VALU_DEP_3)
	v_lshl_or_b32 v10, v10, 16, v16
	s_wait_alu 0xfffe
	v_add_co_ci_u32_e64 v11, s0, 0, v11, s0
	v_cmp_gt_i32_e64 s0, 31, v17
	v_and_or_b32 v6, 0x1ff, v7, v6
	v_lshrrev_b32_e32 v16, 8, v7
	v_bfe_u32 v19, v7, 20, 11
	v_lshrrev_b32_e32 v7, 16, v7
	s_wait_alu 0xf1ff
	v_cndmask_b32_e64 v11, 0x7c00, v11, s0
	v_cmp_ne_u32_e64 s0, v15, v14
	v_add_nc_u32_e32 v15, 0xfffffc10, v20
	s_wait_alu 0xf1ff
	s_delay_alu instid0(VALU_DEP_2) | instskip(SKIP_1) | instid1(VALU_DEP_3)
	v_cndmask_b32_e64 v14, 0, 1, s0
	v_cmp_ne_u32_e64 s0, 0, v6
	v_cmp_eq_u32_e64 s2, 0x40f, v15
	s_delay_alu instid0(VALU_DEP_3) | instskip(SKIP_1) | instid1(VALU_DEP_3)
	v_or_b32_e32 v14, v18, v14
	s_wait_alu 0xf1ff
	v_cndmask_b32_e64 v6, 0, 1, s0
	v_cmp_ne_u32_e64 s0, 0, v0
	v_lshl_or_b32 v18, v15, 12, v4
	v_and_or_b32 v12, 0x1ff, v13, v12
	s_delay_alu instid0(VALU_DEP_4)
	v_and_or_b32 v6, 0xffe, v16, v6
	s_wait_alu 0xf1ff
	v_cndmask_b32_e64 v0, 0, 1, s0
	v_sub_nc_u32_e32 v16, 0x3f1, v19
	v_cmp_gt_i32_e64 s0, 1, v15
	v_lshrrev_b32_e32 v20, 8, v13
	v_bfe_u32 v23, v13, 20, 11
	v_lshl_or_b32 v0, v0, 9, 0x7c00
	v_med3_i32 v16, v16, 0, 13
	s_wait_alu 0xf1ff
	v_cndmask_b32_e64 v14, v18, v14, s0
	v_or_b32_e32 v18, 0x1000, v6
	v_cmp_eq_u32_e64 s0, 0x40f, v17
	v_lshrrev_b32_e32 v13, 16, v13
	s_delay_alu instid0(VALU_DEP_3) | instskip(SKIP_1) | instid1(VALU_DEP_3)
	v_lshrrev_b32_e32 v17, v16, v18
	s_wait_alu 0xf1ff
	v_cndmask_b32_e64 v0, v11, v0, s0
	v_cmp_ne_u32_e64 s0, 0, v12
	v_and_b32_e32 v11, 7, v14
	v_lshlrev_b32_e32 v16, v16, v17
	s_delay_alu instid0(VALU_DEP_4)
	v_and_or_b32 v25, 0x8000, v1, v0
	s_wait_alu 0xf1ff
	v_cndmask_b32_e64 v12, 0, 1, s0
	v_cmp_lt_i32_e64 s0, 5, v11
	v_sub_nc_u32_e32 v0, 0x3f1, v23
	v_cmp_ne_u32_e64 s1, v16, v18
	v_add_nc_u32_e32 v16, 0xfffffc10, v19
	v_and_or_b32 v12, 0xffe, v20, v12
	s_delay_alu instid0(VALU_DEP_4)
	v_med3_i32 v0, v0, 0, 13
	s_wait_alu 0xf1ff
	v_cndmask_b32_e64 v1, 0, 1, s1
	v_cmp_eq_u32_e64 s1, 3, v11
	v_lshrrev_b32_e32 v11, 2, v14
	v_or_b32_e32 v18, 0x1000, v12
	v_lshl_or_b32 v14, v16, 12, v6
	v_or_b32_e32 v1, v17, v1
	s_or_b32 s0, s1, s0
	s_wait_alu 0xfffe
	v_add_co_ci_u32_e64 v11, s0, 0, v11, s0
	v_cmp_gt_i32_e64 s0, 1, v16
	v_lshrrev_b32_e32 v17, v0, v18
	s_wait_alu 0xf1ff
	s_delay_alu instid0(VALU_DEP_2) | instskip(SKIP_1) | instid1(VALU_DEP_3)
	v_cndmask_b32_e64 v1, v14, v1, s0
	v_cmp_gt_i32_e64 s0, 31, v15
	v_lshlrev_b32_e32 v0, v0, v17
	s_delay_alu instid0(VALU_DEP_3) | instskip(SKIP_1) | instid1(VALU_DEP_3)
	v_and_b32_e32 v14, 7, v1
	s_wait_alu 0xf1ff
	v_cndmask_b32_e64 v11, 0x7c00, v11, s0
	v_cmp_ne_u32_e64 s0, 0, v4
	v_lshrrev_b32_e32 v1, 2, v1
	v_cmp_eq_u32_e64 s1, 3, v14
	s_wait_alu 0xf1ff
	s_delay_alu instid0(VALU_DEP_3) | instskip(SKIP_2) | instid1(VALU_DEP_3)
	v_cndmask_b32_e64 v4, 0, 1, s0
	v_cmp_ne_u32_e64 s0, v0, v18
	v_add_nc_u32_e32 v18, 0xfffffc10, v23
	v_lshl_or_b32 v4, v4, 9, 0x7c00
	s_wait_alu 0xf1ff
	s_delay_alu instid0(VALU_DEP_3) | instskip(SKIP_3) | instid1(VALU_DEP_4)
	v_cndmask_b32_e64 v0, 0, 1, s0
	v_cmp_lt_i32_e64 s0, 5, v14
	v_lshl_or_b32 v14, v18, 12, v12
	v_cndmask_b32_e64 v11, v11, v4, s2
	v_or_b32_e32 v0, v17, v0
	v_cmp_gt_i32_e64 s2, 1, v18
	s_or_b32 s0, s1, s0
	s_delay_alu instid0(VALU_DEP_1)
	v_cndmask_b32_e64 v4, v14, v0, s2
	s_wait_alu 0xfffe
	v_add_co_ci_u32_e64 v0, s0, 0, v1, s0
	v_cmp_ne_u32_e64 s0, 0, v6
	v_lshrrev_b32_e32 v14, 16, v5
	v_and_b32_e32 v6, 7, v4
	v_lshrrev_b32_e32 v4, 2, v4
	v_cmp_eq_u32_e64 s2, 0x40f, v16
	s_wait_alu 0xf1ff
	v_cndmask_b32_e64 v1, 0, 1, s0
	v_cmp_gt_i32_e64 s0, 31, v16
	v_cmp_eq_u32_e64 s1, 3, v6
	v_and_or_b32 v11, 0x8000, v14, v11
	s_delay_alu instid0(VALU_DEP_4) | instskip(SKIP_4) | instid1(VALU_DEP_3)
	v_lshl_or_b32 v15, v1, 9, 0x7c00
	s_wait_alu 0xf1ff
	v_cndmask_b32_e64 v5, 0x7c00, v0, s0
	v_cmp_lt_i32_e64 s0, 5, v6
	v_mad_co_u64_u32 v[0:1], null, s4, v93, 0
	v_cndmask_b32_e64 v6, v5, v15, s2
	s_delay_alu instid0(VALU_DEP_3)
	s_or_b32 s0, s1, s0
	s_wait_alu 0xfffe
	v_add_co_ci_u32_e64 v4, s0, 0, v4, s0
	v_cmp_ne_u32_e64 s0, 0, v12
	v_and_or_b32 v6, 0x8000, v7, v6
	s_wait_alu 0xf1ff
	s_delay_alu instid0(VALU_DEP_2) | instskip(SKIP_2) | instid1(VALU_DEP_1)
	v_cndmask_b32_e64 v12, 0, 1, s0
	v_cmp_gt_i32_e64 s0, 31, v18
	s_wait_alu 0xf1ff
	v_cndmask_b32_e64 v15, 0x7c00, v4, s0
	v_mad_co_u64_u32 v[4:5], null, s5, v93, v[1:2]
	v_lshl_or_b32 v1, v12, 9, 0x7c00
	v_cmp_eq_u32_e64 s0, 0x40f, v18
	v_and_b32_e32 v12, 0xffff, v25
	s_wait_alu 0xf1ff
	s_delay_alu instid0(VALU_DEP_2)
	v_cndmask_b32_e64 v7, v15, v1, s0
	v_mov_b32_e32 v1, v4
	v_add_co_u32 v4, s0, v8, s6
	s_wait_alu 0xf1ff
	v_add_co_ci_u32_e64 v5, s0, s7, v9, s0
	v_lshl_or_b32 v11, v11, 16, v12
	v_and_or_b32 v12, 0x8000, v13, v7
	v_and_b32_e32 v13, 0xffff, v6
	v_lshlrev_b64_e32 v[6:7], 2, v[0:1]
	v_add_co_u32 v0, s0, v4, s6
	s_wait_alu 0xf1ff
	v_add_co_ci_u32_e64 v1, s0, s7, v5, s0
	v_lshl_or_b32 v12, v12, 16, v13
	s_delay_alu instid0(VALU_DEP_4)
	v_add_co_u32 v2, s0, v2, v6
	s_wait_alu 0xf1ff
	v_add_co_ci_u32_e64 v3, s0, v3, v7, s0
	global_store_b32 v[8:9], v26, off
	global_store_b32 v[4:5], v10, off
	;; [unrolled: 1-line block ×4, first 2 shown]
	s_and_b32 exec_lo, exec_lo, vcc_lo
	s_cbranch_execz .LBB0_15
; %bb.14:
	global_load_b32 v4, v[21:22], off offset:68
	ds_load_2addr_b32 v[2:3], v70 offset0:17 offset1:41
	v_mad_co_u64_u32 v[0:1], null, 0xfffffaa4, s4, v[0:1]
	s_wait_dscnt 0x0
	v_lshrrev_b32_e32 v5, 16, v2
	s_wait_loadcnt 0x0
	v_lshrrev_b32_e32 v6, 16, v4
	s_delay_alu instid0(VALU_DEP_1) | instskip(SKIP_1) | instid1(VALU_DEP_2)
	v_mul_f16_e32 v7, v5, v6
	v_mul_f16_e32 v6, v2, v6
	v_fmac_f16_e32 v7, v2, v4
	s_delay_alu instid0(VALU_DEP_2) | instskip(NEXT) | instid1(VALU_DEP_2)
	v_fma_f16 v2, v4, v5, -v6
	v_cvt_f32_f16_e32 v4, v7
	s_delay_alu instid0(VALU_DEP_2) | instskip(NEXT) | instid1(VALU_DEP_2)
	v_cvt_f32_f16_e32 v2, v2
	v_cvt_f64_f32_e32 v[4:5], v4
	s_delay_alu instid0(VALU_DEP_2) | instskip(NEXT) | instid1(VALU_DEP_2)
	v_cvt_f64_f32_e32 v[6:7], v2
	v_mul_f64_e32 v[4:5], s[8:9], v[4:5]
	s_delay_alu instid0(VALU_DEP_2) | instskip(NEXT) | instid1(VALU_DEP_2)
	v_mul_f64_e32 v[6:7], s[8:9], v[6:7]
	v_and_or_b32 v2, 0x1ff, v5, v4
	s_delay_alu instid0(VALU_DEP_2)
	v_and_or_b32 v6, 0x1ff, v7, v6
	v_lshrrev_b32_e32 v4, 8, v5
	v_bfe_u32 v8, v5, 20, 11
	v_lshrrev_b32_e32 v9, 8, v7
	v_cmp_ne_u32_e32 vcc_lo, 0, v2
	v_bfe_u32 v10, v7, 20, 11
	v_lshrrev_b32_e32 v5, 16, v5
	v_sub_nc_u32_e32 v11, 0x3f1, v8
	v_add_nc_u32_e32 v8, 0xfffffc10, v8
	s_wait_alu 0xfffd
	v_cndmask_b32_e64 v2, 0, 1, vcc_lo
	v_cmp_ne_u32_e32 vcc_lo, 0, v6
	v_lshrrev_b32_e32 v7, 16, v7
	s_delay_alu instid0(VALU_DEP_3) | instskip(SKIP_4) | instid1(VALU_DEP_3)
	v_and_or_b32 v2, 0xffe, v4, v2
	s_wait_alu 0xfffd
	v_cndmask_b32_e64 v6, 0, 1, vcc_lo
	v_sub_nc_u32_e32 v4, 0x3f1, v10
	v_add_nc_u32_e32 v10, 0xfffffc10, v10
	v_and_or_b32 v6, 0xffe, v9, v6
	v_med3_i32 v9, v11, 0, 13
	v_or_b32_e32 v11, 0x1000, v2
	v_med3_i32 v4, v4, 0, 13
	s_delay_alu instid0(VALU_DEP_4) | instskip(NEXT) | instid1(VALU_DEP_3)
	v_or_b32_e32 v12, 0x1000, v6
	v_lshrrev_b32_e32 v13, v9, v11
	s_delay_alu instid0(VALU_DEP_2) | instskip(NEXT) | instid1(VALU_DEP_2)
	v_lshrrev_b32_e32 v14, v4, v12
	v_lshlrev_b32_e32 v9, v9, v13
	s_delay_alu instid0(VALU_DEP_1) | instskip(SKIP_3) | instid1(VALU_DEP_1)
	v_cmp_ne_u32_e32 vcc_lo, v9, v11
	v_lshl_or_b32 v11, v8, 12, v2
	s_wait_alu 0xfffd
	v_cndmask_b32_e64 v9, 0, 1, vcc_lo
	v_or_b32_e32 v9, v13, v9
	v_lshlrev_b32_e32 v4, v4, v14
	s_delay_alu instid0(VALU_DEP_1) | instskip(SKIP_4) | instid1(VALU_DEP_2)
	v_cmp_ne_u32_e32 vcc_lo, v4, v12
	v_lshl_or_b32 v12, v10, 12, v6
	s_wait_alu 0xfffd
	v_cndmask_b32_e64 v4, 0, 1, vcc_lo
	v_cmp_gt_i32_e32 vcc_lo, 1, v8
	v_or_b32_e32 v4, v14, v4
	s_wait_alu 0xfffd
	v_cndmask_b32_e32 v9, v11, v9, vcc_lo
	v_cmp_gt_i32_e32 vcc_lo, 1, v10
	s_wait_alu 0xfffd
	s_delay_alu instid0(VALU_DEP_2) | instskip(SKIP_2) | instid1(VALU_DEP_3)
	v_dual_cndmask_b32 v4, v12, v4 :: v_dual_and_b32 v11, 7, v9
	v_cmp_ne_u32_e32 vcc_lo, 0, v2
	v_lshrrev_b32_e32 v9, 2, v9
	v_cmp_eq_u32_e64 s0, 3, v11
	s_wait_alu 0xfffd
	v_cndmask_b32_e64 v2, 0, 1, vcc_lo
	v_cmp_ne_u32_e32 vcc_lo, 0, v6
	s_delay_alu instid0(VALU_DEP_2) | instskip(SKIP_3) | instid1(VALU_DEP_2)
	v_lshl_or_b32 v2, v2, 9, 0x7c00
	s_wait_alu 0xfffd
	v_cndmask_b32_e64 v6, 0, 1, vcc_lo
	v_cmp_lt_i32_e32 vcc_lo, 5, v11
	v_lshl_or_b32 v6, v6, 9, 0x7c00
	s_or_b32 vcc_lo, s0, vcc_lo
	s_mul_i32 s0, s5, 0xfffffaa4
	s_wait_alu 0xfffe
	v_add_co_ci_u32_e32 v9, vcc_lo, 0, v9, vcc_lo
	v_and_b32_e32 v12, 7, v4
	v_lshrrev_b32_e32 v4, 2, v4
	s_sub_co_i32 s0, s0, s4
	s_wait_alu 0xfffe
	v_add_nc_u32_e32 v1, s0, v1
	v_cmp_lt_i32_e64 s1, 5, v12
	v_cmp_eq_u32_e64 s2, 3, v12
	s_delay_alu instid0(VALU_DEP_1)
	s_or_b32 vcc_lo, s2, s1
	s_wait_alu 0xfffe
	v_add_co_ci_u32_e32 v4, vcc_lo, 0, v4, vcc_lo
	v_cmp_gt_i32_e32 vcc_lo, 31, v8
	s_wait_alu 0xfffd
	v_cndmask_b32_e32 v9, 0x7c00, v9, vcc_lo
	v_cmp_gt_i32_e32 vcc_lo, 31, v10
	s_wait_alu 0xfffd
	v_cndmask_b32_e32 v4, 0x7c00, v4, vcc_lo
	v_cmp_eq_u32_e32 vcc_lo, 0x40f, v8
	s_wait_alu 0xfffd
	v_cndmask_b32_e32 v2, v9, v2, vcc_lo
	v_cmp_eq_u32_e32 vcc_lo, 0x40f, v10
	s_delay_alu instid0(VALU_DEP_2) | instskip(SKIP_2) | instid1(VALU_DEP_2)
	v_and_or_b32 v2, 0x8000, v5, v2
	s_wait_alu 0xfffd
	v_cndmask_b32_e32 v4, v4, v6, vcc_lo
	v_and_b32_e32 v2, 0xffff, v2
	s_delay_alu instid0(VALU_DEP_2) | instskip(NEXT) | instid1(VALU_DEP_1)
	v_and_or_b32 v4, 0x8000, v7, v4
	v_lshl_or_b32 v2, v4, 16, v2
	v_lshrrev_b32_e32 v4, 16, v3
	global_store_b32 v[0:1], v2, off
	global_load_b32 v2, v[21:22], off offset:164
	s_wait_loadcnt 0x0
	v_lshrrev_b32_e32 v5, 16, v2
	s_delay_alu instid0(VALU_DEP_1) | instskip(SKIP_1) | instid1(VALU_DEP_2)
	v_mul_f16_e32 v6, v4, v5
	v_mul_f16_e32 v5, v3, v5
	v_fmac_f16_e32 v6, v3, v2
	s_delay_alu instid0(VALU_DEP_2) | instskip(NEXT) | instid1(VALU_DEP_2)
	v_fma_f16 v2, v2, v4, -v5
	v_cvt_f32_f16_e32 v3, v6
	s_delay_alu instid0(VALU_DEP_2) | instskip(NEXT) | instid1(VALU_DEP_2)
	v_cvt_f32_f16_e32 v4, v2
	v_cvt_f64_f32_e32 v[2:3], v3
	s_delay_alu instid0(VALU_DEP_2) | instskip(NEXT) | instid1(VALU_DEP_2)
	v_cvt_f64_f32_e32 v[4:5], v4
	v_mul_f64_e32 v[2:3], s[8:9], v[2:3]
	s_delay_alu instid0(VALU_DEP_2) | instskip(NEXT) | instid1(VALU_DEP_2)
	v_mul_f64_e32 v[4:5], s[8:9], v[4:5]
	v_and_or_b32 v2, 0x1ff, v3, v2
	s_delay_alu instid0(VALU_DEP_2)
	v_and_or_b32 v4, 0x1ff, v5, v4
	v_lshrrev_b32_e32 v6, 8, v3
	v_bfe_u32 v7, v3, 20, 11
	v_lshrrev_b32_e32 v8, 8, v5
	v_cmp_ne_u32_e32 vcc_lo, 0, v2
	v_bfe_u32 v9, v5, 20, 11
	v_lshrrev_b32_e32 v3, 16, v3
	v_sub_nc_u32_e32 v10, 0x3f1, v7
	v_add_nc_u32_e32 v7, 0xfffffc10, v7
	s_wait_alu 0xfffd
	v_cndmask_b32_e64 v2, 0, 1, vcc_lo
	v_cmp_ne_u32_e32 vcc_lo, 0, v4
	v_lshrrev_b32_e32 v5, 16, v5
	s_delay_alu instid0(VALU_DEP_3) | instskip(SKIP_3) | instid1(VALU_DEP_2)
	v_and_or_b32 v2, 0xffe, v6, v2
	s_wait_alu 0xfffd
	v_cndmask_b32_e64 v4, 0, 1, vcc_lo
	v_sub_nc_u32_e32 v6, 0x3f1, v9
	v_and_or_b32 v4, 0xffe, v8, v4
	v_med3_i32 v8, v10, 0, 13
	v_or_b32_e32 v10, 0x1000, v2
	s_delay_alu instid0(VALU_DEP_4) | instskip(NEXT) | instid1(VALU_DEP_4)
	v_med3_i32 v6, v6, 0, 13
	v_or_b32_e32 v11, 0x1000, v4
	s_delay_alu instid0(VALU_DEP_3) | instskip(NEXT) | instid1(VALU_DEP_2)
	v_lshrrev_b32_e32 v12, v8, v10
	v_lshrrev_b32_e32 v13, v6, v11
	s_delay_alu instid0(VALU_DEP_2) | instskip(NEXT) | instid1(VALU_DEP_2)
	v_lshlrev_b32_e32 v8, v8, v12
	v_lshlrev_b32_e32 v6, v6, v13
	s_delay_alu instid0(VALU_DEP_2) | instskip(SKIP_4) | instid1(VALU_DEP_2)
	v_cmp_ne_u32_e32 vcc_lo, v8, v10
	v_lshl_or_b32 v10, v7, 12, v2
	s_wait_alu 0xfffd
	v_cndmask_b32_e64 v8, 0, 1, vcc_lo
	v_cmp_ne_u32_e32 vcc_lo, v6, v11
	v_or_b32_e32 v8, v12, v8
	s_wait_alu 0xfffd
	v_cndmask_b32_e64 v6, 0, 1, vcc_lo
	v_cmp_gt_i32_e32 vcc_lo, 1, v7
	v_add_nc_u32_e32 v9, 0xfffffc10, v9
	s_delay_alu instid0(VALU_DEP_3) | instskip(SKIP_2) | instid1(VALU_DEP_3)
	v_or_b32_e32 v6, v13, v6
	s_wait_alu 0xfffd
	v_cndmask_b32_e32 v8, v10, v8, vcc_lo
	v_lshl_or_b32 v11, v9, 12, v4
	v_cmp_gt_i32_e32 vcc_lo, 1, v9
	s_delay_alu instid0(VALU_DEP_3)
	v_and_b32_e32 v10, 7, v8
	v_lshrrev_b32_e32 v8, 2, v8
	s_wait_alu 0xfffd
	v_cndmask_b32_e32 v6, v11, v6, vcc_lo
	v_cmp_ne_u32_e32 vcc_lo, 0, v2
	v_cmp_eq_u32_e64 s0, 3, v10
	s_wait_alu 0xfffd
	v_cndmask_b32_e64 v2, 0, 1, vcc_lo
	v_cmp_ne_u32_e32 vcc_lo, 0, v4
	s_delay_alu instid0(VALU_DEP_2) | instskip(SKIP_3) | instid1(VALU_DEP_2)
	v_lshl_or_b32 v2, v2, 9, 0x7c00
	s_wait_alu 0xfffd
	v_cndmask_b32_e64 v4, 0, 1, vcc_lo
	v_cmp_lt_i32_e32 vcc_lo, 5, v10
	v_lshl_or_b32 v4, v4, 9, 0x7c00
	s_or_b32 vcc_lo, s0, vcc_lo
	s_wait_alu 0xfffe
	v_add_co_ci_u32_e32 v8, vcc_lo, 0, v8, vcc_lo
	v_and_b32_e32 v11, 7, v6
	v_lshrrev_b32_e32 v6, 2, v6
	s_delay_alu instid0(VALU_DEP_2) | instskip(SKIP_1) | instid1(VALU_DEP_1)
	v_cmp_lt_i32_e64 s1, 5, v11
	v_cmp_eq_u32_e64 s2, 3, v11
	s_or_b32 vcc_lo, s2, s1
	s_wait_alu 0xfffe
	v_add_co_ci_u32_e32 v6, vcc_lo, 0, v6, vcc_lo
	v_cmp_gt_i32_e32 vcc_lo, 31, v7
	s_wait_alu 0xfffd
	v_cndmask_b32_e32 v8, 0x7c00, v8, vcc_lo
	v_cmp_gt_i32_e32 vcc_lo, 31, v9
	s_wait_alu 0xfffd
	v_cndmask_b32_e32 v6, 0x7c00, v6, vcc_lo
	v_cmp_eq_u32_e32 vcc_lo, 0x40f, v7
	s_wait_alu 0xfffd
	v_cndmask_b32_e32 v2, v8, v2, vcc_lo
	v_cmp_eq_u32_e32 vcc_lo, 0x40f, v9
	s_delay_alu instid0(VALU_DEP_2)
	v_and_or_b32 v2, 0x8000, v3, v2
	s_wait_alu 0xfffd
	v_cndmask_b32_e32 v4, v6, v4, vcc_lo
	v_add_co_u32 v0, vcc_lo, v0, s6
	s_wait_alu 0xfffd
	v_add_co_ci_u32_e32 v1, vcc_lo, s7, v1, vcc_lo
	s_delay_alu instid0(VALU_DEP_3) | instskip(SKIP_1) | instid1(VALU_DEP_1)
	v_and_or_b32 v3, 0x8000, v5, v4
	v_and_b32_e32 v2, 0xffff, v2
	v_lshl_or_b32 v2, v3, 16, v2
	global_store_b32 v[0:1], v2, off
	global_load_b32 v4, v[21:22], off offset:260
	ds_load_2addr_b32 v[2:3], v70 offset0:65 offset1:89
	s_wait_dscnt 0x0
	v_lshrrev_b32_e32 v5, 16, v2
	s_wait_loadcnt 0x0
	v_lshrrev_b32_e32 v6, 16, v4
	s_delay_alu instid0(VALU_DEP_1) | instskip(SKIP_1) | instid1(VALU_DEP_2)
	v_mul_f16_e32 v7, v5, v6
	v_mul_f16_e32 v6, v2, v6
	v_fmac_f16_e32 v7, v2, v4
	s_delay_alu instid0(VALU_DEP_2) | instskip(NEXT) | instid1(VALU_DEP_2)
	v_fma_f16 v2, v4, v5, -v6
	v_cvt_f32_f16_e32 v4, v7
	s_delay_alu instid0(VALU_DEP_2) | instskip(NEXT) | instid1(VALU_DEP_2)
	v_cvt_f32_f16_e32 v2, v2
	v_cvt_f64_f32_e32 v[4:5], v4
	s_delay_alu instid0(VALU_DEP_2) | instskip(NEXT) | instid1(VALU_DEP_2)
	v_cvt_f64_f32_e32 v[6:7], v2
	v_mul_f64_e32 v[4:5], s[8:9], v[4:5]
	s_delay_alu instid0(VALU_DEP_2) | instskip(NEXT) | instid1(VALU_DEP_2)
	v_mul_f64_e32 v[6:7], s[8:9], v[6:7]
	v_and_or_b32 v2, 0x1ff, v5, v4
	s_delay_alu instid0(VALU_DEP_2)
	v_and_or_b32 v6, 0x1ff, v7, v6
	v_lshrrev_b32_e32 v4, 8, v5
	v_bfe_u32 v8, v5, 20, 11
	v_lshrrev_b32_e32 v9, 8, v7
	v_cmp_ne_u32_e32 vcc_lo, 0, v2
	v_bfe_u32 v10, v7, 20, 11
	v_lshrrev_b32_e32 v5, 16, v5
	v_sub_nc_u32_e32 v11, 0x3f1, v8
	v_add_nc_u32_e32 v8, 0xfffffc10, v8
	s_wait_alu 0xfffd
	v_cndmask_b32_e64 v2, 0, 1, vcc_lo
	v_cmp_ne_u32_e32 vcc_lo, 0, v6
	v_lshrrev_b32_e32 v7, 16, v7
	s_delay_alu instid0(VALU_DEP_3) | instskip(SKIP_4) | instid1(VALU_DEP_3)
	v_and_or_b32 v2, 0xffe, v4, v2
	s_wait_alu 0xfffd
	v_cndmask_b32_e64 v6, 0, 1, vcc_lo
	v_sub_nc_u32_e32 v4, 0x3f1, v10
	v_add_nc_u32_e32 v10, 0xfffffc10, v10
	v_and_or_b32 v6, 0xffe, v9, v6
	v_med3_i32 v9, v11, 0, 13
	v_or_b32_e32 v11, 0x1000, v2
	v_med3_i32 v4, v4, 0, 13
	s_delay_alu instid0(VALU_DEP_4) | instskip(NEXT) | instid1(VALU_DEP_3)
	v_or_b32_e32 v12, 0x1000, v6
	v_lshrrev_b32_e32 v13, v9, v11
	s_delay_alu instid0(VALU_DEP_2) | instskip(NEXT) | instid1(VALU_DEP_2)
	v_lshrrev_b32_e32 v14, v4, v12
	v_lshlrev_b32_e32 v9, v9, v13
	s_delay_alu instid0(VALU_DEP_2) | instskip(NEXT) | instid1(VALU_DEP_2)
	v_lshlrev_b32_e32 v4, v4, v14
	v_cmp_ne_u32_e32 vcc_lo, v9, v11
	v_lshl_or_b32 v11, v8, 12, v2
	s_wait_alu 0xfffd
	v_cndmask_b32_e64 v9, 0, 1, vcc_lo
	v_cmp_ne_u32_e32 vcc_lo, v4, v12
	v_lshl_or_b32 v12, v10, 12, v6
	s_delay_alu instid0(VALU_DEP_3) | instskip(SKIP_3) | instid1(VALU_DEP_2)
	v_or_b32_e32 v9, v13, v9
	s_wait_alu 0xfffd
	v_cndmask_b32_e64 v4, 0, 1, vcc_lo
	v_cmp_gt_i32_e32 vcc_lo, 1, v8
	v_or_b32_e32 v4, v14, v4
	s_wait_alu 0xfffd
	v_cndmask_b32_e32 v9, v11, v9, vcc_lo
	v_cmp_gt_i32_e32 vcc_lo, 1, v10
	s_wait_alu 0xfffd
	s_delay_alu instid0(VALU_DEP_2) | instskip(SKIP_2) | instid1(VALU_DEP_3)
	v_dual_cndmask_b32 v4, v12, v4 :: v_dual_and_b32 v11, 7, v9
	v_cmp_ne_u32_e32 vcc_lo, 0, v2
	v_lshrrev_b32_e32 v9, 2, v9
	v_cmp_eq_u32_e64 s0, 3, v11
	s_delay_alu instid0(VALU_DEP_4)
	v_and_b32_e32 v12, 7, v4
	s_wait_alu 0xfffd
	v_cndmask_b32_e64 v2, 0, 1, vcc_lo
	v_cmp_ne_u32_e32 vcc_lo, 0, v6
	v_lshrrev_b32_e32 v4, 2, v4
	v_cmp_lt_i32_e64 s1, 5, v12
	v_cmp_eq_u32_e64 s2, 3, v12
	s_wait_alu 0xfffd
	v_cndmask_b32_e64 v6, 0, 1, vcc_lo
	v_cmp_lt_i32_e32 vcc_lo, 5, v11
	v_lshl_or_b32 v2, v2, 9, 0x7c00
	s_delay_alu instid0(VALU_DEP_3)
	v_lshl_or_b32 v6, v6, 9, 0x7c00
	s_or_b32 vcc_lo, s0, vcc_lo
	s_wait_alu 0xfffe
	v_add_co_ci_u32_e32 v9, vcc_lo, 0, v9, vcc_lo
	s_or_b32 vcc_lo, s2, s1
	s_wait_alu 0xfffe
	v_add_co_ci_u32_e32 v4, vcc_lo, 0, v4, vcc_lo
	v_cmp_gt_i32_e32 vcc_lo, 31, v8
	s_wait_alu 0xfffd
	v_cndmask_b32_e32 v9, 0x7c00, v9, vcc_lo
	v_cmp_gt_i32_e32 vcc_lo, 31, v10
	s_wait_alu 0xfffd
	v_cndmask_b32_e32 v4, 0x7c00, v4, vcc_lo
	v_cmp_eq_u32_e32 vcc_lo, 0x40f, v8
	s_wait_alu 0xfffd
	v_cndmask_b32_e32 v2, v9, v2, vcc_lo
	v_cmp_eq_u32_e32 vcc_lo, 0x40f, v10
	s_delay_alu instid0(VALU_DEP_2)
	v_and_or_b32 v2, 0x8000, v5, v2
	s_wait_alu 0xfffd
	v_cndmask_b32_e32 v4, v4, v6, vcc_lo
	v_add_co_u32 v0, vcc_lo, v0, s6
	s_wait_alu 0xfffd
	v_add_co_ci_u32_e32 v1, vcc_lo, s7, v1, vcc_lo
	s_delay_alu instid0(VALU_DEP_3) | instskip(SKIP_1) | instid1(VALU_DEP_1)
	v_and_or_b32 v4, 0x8000, v7, v4
	v_and_b32_e32 v2, 0xffff, v2
	v_lshl_or_b32 v2, v4, 16, v2
	v_lshrrev_b32_e32 v4, 16, v3
	global_store_b32 v[0:1], v2, off
	global_load_b32 v2, v[21:22], off offset:356
	s_wait_loadcnt 0x0
	v_lshrrev_b32_e32 v5, 16, v2
	s_delay_alu instid0(VALU_DEP_1) | instskip(SKIP_1) | instid1(VALU_DEP_2)
	v_mul_f16_e32 v6, v4, v5
	v_mul_f16_e32 v5, v3, v5
	v_fmac_f16_e32 v6, v3, v2
	s_delay_alu instid0(VALU_DEP_2) | instskip(NEXT) | instid1(VALU_DEP_2)
	v_fma_f16 v2, v2, v4, -v5
	v_cvt_f32_f16_e32 v3, v6
	s_delay_alu instid0(VALU_DEP_2) | instskip(NEXT) | instid1(VALU_DEP_2)
	v_cvt_f32_f16_e32 v4, v2
	v_cvt_f64_f32_e32 v[2:3], v3
	s_delay_alu instid0(VALU_DEP_2) | instskip(NEXT) | instid1(VALU_DEP_2)
	v_cvt_f64_f32_e32 v[4:5], v4
	v_mul_f64_e32 v[2:3], s[8:9], v[2:3]
	s_delay_alu instid0(VALU_DEP_2) | instskip(NEXT) | instid1(VALU_DEP_2)
	v_mul_f64_e32 v[4:5], s[8:9], v[4:5]
	v_and_or_b32 v2, 0x1ff, v3, v2
	s_delay_alu instid0(VALU_DEP_2)
	v_and_or_b32 v4, 0x1ff, v5, v4
	v_lshrrev_b32_e32 v6, 8, v3
	v_bfe_u32 v7, v3, 20, 11
	v_lshrrev_b32_e32 v8, 8, v5
	v_cmp_ne_u32_e32 vcc_lo, 0, v2
	v_bfe_u32 v9, v5, 20, 11
	v_lshrrev_b32_e32 v3, 16, v3
	v_sub_nc_u32_e32 v10, 0x3f1, v7
	v_add_nc_u32_e32 v7, 0xfffffc10, v7
	s_wait_alu 0xfffd
	v_cndmask_b32_e64 v2, 0, 1, vcc_lo
	v_cmp_ne_u32_e32 vcc_lo, 0, v4
	v_lshrrev_b32_e32 v5, 16, v5
	s_delay_alu instid0(VALU_DEP_3) | instskip(SKIP_4) | instid1(VALU_DEP_3)
	v_and_or_b32 v2, 0xffe, v6, v2
	s_wait_alu 0xfffd
	v_cndmask_b32_e64 v4, 0, 1, vcc_lo
	v_sub_nc_u32_e32 v6, 0x3f1, v9
	v_add_nc_u32_e32 v9, 0xfffffc10, v9
	v_and_or_b32 v4, 0xffe, v8, v4
	v_med3_i32 v8, v10, 0, 13
	v_or_b32_e32 v10, 0x1000, v2
	v_med3_i32 v6, v6, 0, 13
	s_delay_alu instid0(VALU_DEP_4) | instskip(NEXT) | instid1(VALU_DEP_3)
	v_or_b32_e32 v11, 0x1000, v4
	v_lshrrev_b32_e32 v12, v8, v10
	s_delay_alu instid0(VALU_DEP_2) | instskip(NEXT) | instid1(VALU_DEP_2)
	v_lshrrev_b32_e32 v13, v6, v11
	v_lshlrev_b32_e32 v8, v8, v12
	s_delay_alu instid0(VALU_DEP_2) | instskip(NEXT) | instid1(VALU_DEP_2)
	v_lshlrev_b32_e32 v6, v6, v13
	v_cmp_ne_u32_e32 vcc_lo, v8, v10
	v_lshl_or_b32 v10, v7, 12, v2
	s_wait_alu 0xfffd
	v_cndmask_b32_e64 v8, 0, 1, vcc_lo
	v_cmp_ne_u32_e32 vcc_lo, v6, v11
	v_lshl_or_b32 v11, v9, 12, v4
	s_delay_alu instid0(VALU_DEP_3) | instskip(SKIP_3) | instid1(VALU_DEP_2)
	v_or_b32_e32 v8, v12, v8
	s_wait_alu 0xfffd
	v_cndmask_b32_e64 v6, 0, 1, vcc_lo
	v_cmp_gt_i32_e32 vcc_lo, 1, v7
	v_or_b32_e32 v6, v13, v6
	s_wait_alu 0xfffd
	v_cndmask_b32_e32 v8, v10, v8, vcc_lo
	v_cmp_gt_i32_e32 vcc_lo, 1, v9
	s_delay_alu instid0(VALU_DEP_2)
	v_and_b32_e32 v10, 7, v8
	s_wait_alu 0xfffd
	v_cndmask_b32_e32 v6, v11, v6, vcc_lo
	v_cmp_ne_u32_e32 vcc_lo, 0, v2
	v_lshrrev_b32_e32 v8, 2, v8
	v_cmp_eq_u32_e64 s0, 3, v10
	s_delay_alu instid0(VALU_DEP_4)
	v_and_b32_e32 v11, 7, v6
	s_wait_alu 0xfffd
	v_cndmask_b32_e64 v2, 0, 1, vcc_lo
	v_cmp_ne_u32_e32 vcc_lo, 0, v4
	v_lshrrev_b32_e32 v6, 2, v6
	v_cmp_lt_i32_e64 s1, 5, v11
	v_cmp_eq_u32_e64 s2, 3, v11
	s_wait_alu 0xfffd
	v_cndmask_b32_e64 v4, 0, 1, vcc_lo
	v_cmp_lt_i32_e32 vcc_lo, 5, v10
	v_lshl_or_b32 v2, v2, 9, 0x7c00
	s_delay_alu instid0(VALU_DEP_3)
	v_lshl_or_b32 v4, v4, 9, 0x7c00
	s_or_b32 vcc_lo, s0, vcc_lo
	s_wait_alu 0xfffe
	v_add_co_ci_u32_e32 v8, vcc_lo, 0, v8, vcc_lo
	s_or_b32 vcc_lo, s2, s1
	s_wait_alu 0xfffe
	v_add_co_ci_u32_e32 v6, vcc_lo, 0, v6, vcc_lo
	v_cmp_gt_i32_e32 vcc_lo, 31, v7
	s_wait_alu 0xfffd
	v_cndmask_b32_e32 v8, 0x7c00, v8, vcc_lo
	v_cmp_gt_i32_e32 vcc_lo, 31, v9
	s_wait_alu 0xfffd
	v_cndmask_b32_e32 v6, 0x7c00, v6, vcc_lo
	v_cmp_eq_u32_e32 vcc_lo, 0x40f, v7
	s_wait_alu 0xfffd
	v_cndmask_b32_e32 v2, v8, v2, vcc_lo
	v_cmp_eq_u32_e32 vcc_lo, 0x40f, v9
	s_delay_alu instid0(VALU_DEP_2)
	v_and_or_b32 v2, 0x8000, v3, v2
	s_wait_alu 0xfffd
	v_cndmask_b32_e32 v4, v6, v4, vcc_lo
	v_add_co_u32 v0, vcc_lo, v0, s6
	s_wait_alu 0xfffd
	v_add_co_ci_u32_e32 v1, vcc_lo, s7, v1, vcc_lo
	s_delay_alu instid0(VALU_DEP_3) | instskip(SKIP_1) | instid1(VALU_DEP_1)
	v_and_or_b32 v3, 0x8000, v5, v4
	v_and_b32_e32 v2, 0xffff, v2
	v_lshl_or_b32 v2, v3, 16, v2
	global_store_b32 v[0:1], v2, off
	global_load_b32 v4, v[21:22], off offset:452
	ds_load_2addr_b32 v[2:3], v70 offset0:113 offset1:137
	s_wait_dscnt 0x0
	v_lshrrev_b32_e32 v5, 16, v2
	s_wait_loadcnt 0x0
	v_lshrrev_b32_e32 v6, 16, v4
	s_delay_alu instid0(VALU_DEP_1) | instskip(SKIP_1) | instid1(VALU_DEP_2)
	v_mul_f16_e32 v7, v5, v6
	v_mul_f16_e32 v6, v2, v6
	v_fmac_f16_e32 v7, v2, v4
	s_delay_alu instid0(VALU_DEP_2) | instskip(NEXT) | instid1(VALU_DEP_2)
	v_fma_f16 v2, v4, v5, -v6
	v_cvt_f32_f16_e32 v4, v7
	s_delay_alu instid0(VALU_DEP_2) | instskip(NEXT) | instid1(VALU_DEP_2)
	v_cvt_f32_f16_e32 v2, v2
	v_cvt_f64_f32_e32 v[4:5], v4
	s_delay_alu instid0(VALU_DEP_2) | instskip(NEXT) | instid1(VALU_DEP_2)
	v_cvt_f64_f32_e32 v[6:7], v2
	v_mul_f64_e32 v[4:5], s[8:9], v[4:5]
	s_delay_alu instid0(VALU_DEP_2) | instskip(NEXT) | instid1(VALU_DEP_2)
	v_mul_f64_e32 v[6:7], s[8:9], v[6:7]
	v_and_or_b32 v2, 0x1ff, v5, v4
	s_delay_alu instid0(VALU_DEP_2)
	v_and_or_b32 v6, 0x1ff, v7, v6
	v_lshrrev_b32_e32 v4, 8, v5
	v_bfe_u32 v8, v5, 20, 11
	v_lshrrev_b32_e32 v9, 8, v7
	v_cmp_ne_u32_e32 vcc_lo, 0, v2
	v_bfe_u32 v10, v7, 20, 11
	v_lshrrev_b32_e32 v5, 16, v5
	v_sub_nc_u32_e32 v11, 0x3f1, v8
	v_add_nc_u32_e32 v8, 0xfffffc10, v8
	s_wait_alu 0xfffd
	v_cndmask_b32_e64 v2, 0, 1, vcc_lo
	v_cmp_ne_u32_e32 vcc_lo, 0, v6
	v_lshrrev_b32_e32 v7, 16, v7
	s_delay_alu instid0(VALU_DEP_3) | instskip(SKIP_4) | instid1(VALU_DEP_3)
	v_and_or_b32 v2, 0xffe, v4, v2
	s_wait_alu 0xfffd
	v_cndmask_b32_e64 v6, 0, 1, vcc_lo
	v_sub_nc_u32_e32 v4, 0x3f1, v10
	v_add_nc_u32_e32 v10, 0xfffffc10, v10
	v_and_or_b32 v6, 0xffe, v9, v6
	v_med3_i32 v9, v11, 0, 13
	v_or_b32_e32 v11, 0x1000, v2
	v_med3_i32 v4, v4, 0, 13
	s_delay_alu instid0(VALU_DEP_4) | instskip(NEXT) | instid1(VALU_DEP_3)
	v_or_b32_e32 v12, 0x1000, v6
	v_lshrrev_b32_e32 v13, v9, v11
	s_delay_alu instid0(VALU_DEP_2) | instskip(NEXT) | instid1(VALU_DEP_2)
	v_lshrrev_b32_e32 v14, v4, v12
	v_lshlrev_b32_e32 v9, v9, v13
	s_delay_alu instid0(VALU_DEP_2) | instskip(NEXT) | instid1(VALU_DEP_2)
	v_lshlrev_b32_e32 v4, v4, v14
	v_cmp_ne_u32_e32 vcc_lo, v9, v11
	v_lshl_or_b32 v11, v8, 12, v2
	s_wait_alu 0xfffd
	v_cndmask_b32_e64 v9, 0, 1, vcc_lo
	v_cmp_ne_u32_e32 vcc_lo, v4, v12
	v_lshl_or_b32 v12, v10, 12, v6
	s_delay_alu instid0(VALU_DEP_3) | instskip(SKIP_3) | instid1(VALU_DEP_2)
	v_or_b32_e32 v9, v13, v9
	s_wait_alu 0xfffd
	v_cndmask_b32_e64 v4, 0, 1, vcc_lo
	v_cmp_gt_i32_e32 vcc_lo, 1, v8
	v_or_b32_e32 v4, v14, v4
	s_wait_alu 0xfffd
	v_cndmask_b32_e32 v9, v11, v9, vcc_lo
	v_cmp_gt_i32_e32 vcc_lo, 1, v10
	s_wait_alu 0xfffd
	s_delay_alu instid0(VALU_DEP_2) | instskip(SKIP_2) | instid1(VALU_DEP_3)
	v_dual_cndmask_b32 v4, v12, v4 :: v_dual_and_b32 v11, 7, v9
	v_cmp_ne_u32_e32 vcc_lo, 0, v2
	v_lshrrev_b32_e32 v9, 2, v9
	v_cmp_eq_u32_e64 s0, 3, v11
	s_delay_alu instid0(VALU_DEP_4)
	v_and_b32_e32 v12, 7, v4
	s_wait_alu 0xfffd
	v_cndmask_b32_e64 v2, 0, 1, vcc_lo
	v_cmp_ne_u32_e32 vcc_lo, 0, v6
	v_lshrrev_b32_e32 v4, 2, v4
	v_cmp_lt_i32_e64 s1, 5, v12
	v_cmp_eq_u32_e64 s2, 3, v12
	s_wait_alu 0xfffd
	v_cndmask_b32_e64 v6, 0, 1, vcc_lo
	v_cmp_lt_i32_e32 vcc_lo, 5, v11
	v_lshl_or_b32 v2, v2, 9, 0x7c00
	s_delay_alu instid0(VALU_DEP_3)
	v_lshl_or_b32 v6, v6, 9, 0x7c00
	s_or_b32 vcc_lo, s0, vcc_lo
	s_wait_alu 0xfffe
	v_add_co_ci_u32_e32 v9, vcc_lo, 0, v9, vcc_lo
	s_or_b32 vcc_lo, s2, s1
	s_wait_alu 0xfffe
	v_add_co_ci_u32_e32 v4, vcc_lo, 0, v4, vcc_lo
	v_cmp_gt_i32_e32 vcc_lo, 31, v8
	s_wait_alu 0xfffd
	v_cndmask_b32_e32 v9, 0x7c00, v9, vcc_lo
	v_cmp_gt_i32_e32 vcc_lo, 31, v10
	s_wait_alu 0xfffd
	v_cndmask_b32_e32 v4, 0x7c00, v4, vcc_lo
	v_cmp_eq_u32_e32 vcc_lo, 0x40f, v8
	s_wait_alu 0xfffd
	v_cndmask_b32_e32 v2, v9, v2, vcc_lo
	v_cmp_eq_u32_e32 vcc_lo, 0x40f, v10
	s_delay_alu instid0(VALU_DEP_2)
	v_and_or_b32 v2, 0x8000, v5, v2
	s_wait_alu 0xfffd
	v_cndmask_b32_e32 v4, v4, v6, vcc_lo
	v_add_co_u32 v0, vcc_lo, v0, s6
	s_wait_alu 0xfffd
	v_add_co_ci_u32_e32 v1, vcc_lo, s7, v1, vcc_lo
	s_delay_alu instid0(VALU_DEP_3) | instskip(SKIP_1) | instid1(VALU_DEP_1)
	v_and_or_b32 v4, 0x8000, v7, v4
	v_and_b32_e32 v2, 0xffff, v2
	v_lshl_or_b32 v2, v4, 16, v2
	v_lshrrev_b32_e32 v4, 16, v3
	global_store_b32 v[0:1], v2, off
	global_load_b32 v2, v[21:22], off offset:548
	s_wait_loadcnt 0x0
	v_lshrrev_b32_e32 v5, 16, v2
	s_delay_alu instid0(VALU_DEP_1) | instskip(SKIP_1) | instid1(VALU_DEP_2)
	v_mul_f16_e32 v6, v4, v5
	v_mul_f16_e32 v5, v3, v5
	v_fmac_f16_e32 v6, v3, v2
	s_delay_alu instid0(VALU_DEP_2) | instskip(NEXT) | instid1(VALU_DEP_2)
	v_fma_f16 v2, v2, v4, -v5
	v_cvt_f32_f16_e32 v3, v6
	s_delay_alu instid0(VALU_DEP_2) | instskip(NEXT) | instid1(VALU_DEP_2)
	v_cvt_f32_f16_e32 v4, v2
	v_cvt_f64_f32_e32 v[2:3], v3
	s_delay_alu instid0(VALU_DEP_2) | instskip(NEXT) | instid1(VALU_DEP_2)
	v_cvt_f64_f32_e32 v[4:5], v4
	v_mul_f64_e32 v[2:3], s[8:9], v[2:3]
	s_delay_alu instid0(VALU_DEP_2) | instskip(NEXT) | instid1(VALU_DEP_2)
	v_mul_f64_e32 v[4:5], s[8:9], v[4:5]
	v_and_or_b32 v2, 0x1ff, v3, v2
	s_delay_alu instid0(VALU_DEP_2)
	v_and_or_b32 v4, 0x1ff, v5, v4
	v_lshrrev_b32_e32 v6, 8, v3
	v_bfe_u32 v7, v3, 20, 11
	v_lshrrev_b32_e32 v8, 8, v5
	v_cmp_ne_u32_e32 vcc_lo, 0, v2
	v_bfe_u32 v9, v5, 20, 11
	v_lshrrev_b32_e32 v3, 16, v3
	v_sub_nc_u32_e32 v10, 0x3f1, v7
	v_add_nc_u32_e32 v7, 0xfffffc10, v7
	s_wait_alu 0xfffd
	v_cndmask_b32_e64 v2, 0, 1, vcc_lo
	v_cmp_ne_u32_e32 vcc_lo, 0, v4
	v_lshrrev_b32_e32 v5, 16, v5
	s_delay_alu instid0(VALU_DEP_3) | instskip(SKIP_4) | instid1(VALU_DEP_3)
	v_and_or_b32 v2, 0xffe, v6, v2
	s_wait_alu 0xfffd
	v_cndmask_b32_e64 v4, 0, 1, vcc_lo
	v_sub_nc_u32_e32 v6, 0x3f1, v9
	v_add_nc_u32_e32 v9, 0xfffffc10, v9
	v_and_or_b32 v4, 0xffe, v8, v4
	v_med3_i32 v8, v10, 0, 13
	v_or_b32_e32 v10, 0x1000, v2
	v_med3_i32 v6, v6, 0, 13
	s_delay_alu instid0(VALU_DEP_4) | instskip(NEXT) | instid1(VALU_DEP_3)
	v_or_b32_e32 v11, 0x1000, v4
	v_lshrrev_b32_e32 v12, v8, v10
	s_delay_alu instid0(VALU_DEP_2) | instskip(NEXT) | instid1(VALU_DEP_2)
	v_lshrrev_b32_e32 v13, v6, v11
	v_lshlrev_b32_e32 v8, v8, v12
	s_delay_alu instid0(VALU_DEP_2) | instskip(NEXT) | instid1(VALU_DEP_2)
	v_lshlrev_b32_e32 v6, v6, v13
	v_cmp_ne_u32_e32 vcc_lo, v8, v10
	v_lshl_or_b32 v10, v7, 12, v2
	s_wait_alu 0xfffd
	v_cndmask_b32_e64 v8, 0, 1, vcc_lo
	v_cmp_ne_u32_e32 vcc_lo, v6, v11
	v_lshl_or_b32 v11, v9, 12, v4
	s_delay_alu instid0(VALU_DEP_3) | instskip(SKIP_3) | instid1(VALU_DEP_2)
	v_or_b32_e32 v8, v12, v8
	s_wait_alu 0xfffd
	v_cndmask_b32_e64 v6, 0, 1, vcc_lo
	v_cmp_gt_i32_e32 vcc_lo, 1, v7
	v_or_b32_e32 v6, v13, v6
	s_wait_alu 0xfffd
	v_cndmask_b32_e32 v8, v10, v8, vcc_lo
	v_cmp_gt_i32_e32 vcc_lo, 1, v9
	s_delay_alu instid0(VALU_DEP_2)
	v_and_b32_e32 v10, 7, v8
	s_wait_alu 0xfffd
	v_cndmask_b32_e32 v6, v11, v6, vcc_lo
	v_cmp_ne_u32_e32 vcc_lo, 0, v2
	v_lshrrev_b32_e32 v8, 2, v8
	v_cmp_eq_u32_e64 s0, 3, v10
	s_delay_alu instid0(VALU_DEP_4)
	v_and_b32_e32 v11, 7, v6
	s_wait_alu 0xfffd
	v_cndmask_b32_e64 v2, 0, 1, vcc_lo
	v_cmp_ne_u32_e32 vcc_lo, 0, v4
	v_lshrrev_b32_e32 v6, 2, v6
	v_cmp_lt_i32_e64 s1, 5, v11
	v_cmp_eq_u32_e64 s2, 3, v11
	s_wait_alu 0xfffd
	v_cndmask_b32_e64 v4, 0, 1, vcc_lo
	v_cmp_lt_i32_e32 vcc_lo, 5, v10
	v_lshl_or_b32 v2, v2, 9, 0x7c00
	s_delay_alu instid0(VALU_DEP_3)
	v_lshl_or_b32 v4, v4, 9, 0x7c00
	s_or_b32 vcc_lo, s0, vcc_lo
	s_wait_alu 0xfffe
	v_add_co_ci_u32_e32 v8, vcc_lo, 0, v8, vcc_lo
	s_or_b32 vcc_lo, s2, s1
	s_wait_alu 0xfffe
	v_add_co_ci_u32_e32 v6, vcc_lo, 0, v6, vcc_lo
	v_cmp_gt_i32_e32 vcc_lo, 31, v7
	s_wait_alu 0xfffd
	v_cndmask_b32_e32 v8, 0x7c00, v8, vcc_lo
	v_cmp_gt_i32_e32 vcc_lo, 31, v9
	s_wait_alu 0xfffd
	v_cndmask_b32_e32 v6, 0x7c00, v6, vcc_lo
	v_cmp_eq_u32_e32 vcc_lo, 0x40f, v7
	s_wait_alu 0xfffd
	v_cndmask_b32_e32 v2, v8, v2, vcc_lo
	v_cmp_eq_u32_e32 vcc_lo, 0x40f, v9
	s_delay_alu instid0(VALU_DEP_2)
	v_and_or_b32 v2, 0x8000, v3, v2
	s_wait_alu 0xfffd
	v_cndmask_b32_e32 v4, v6, v4, vcc_lo
	v_add_co_u32 v0, vcc_lo, v0, s6
	s_wait_alu 0xfffd
	v_add_co_ci_u32_e32 v1, vcc_lo, s7, v1, vcc_lo
	s_delay_alu instid0(VALU_DEP_3) | instskip(SKIP_1) | instid1(VALU_DEP_1)
	v_and_or_b32 v3, 0x8000, v5, v4
	v_and_b32_e32 v2, 0xffff, v2
	v_lshl_or_b32 v2, v3, 16, v2
	global_store_b32 v[0:1], v2, off
	global_load_b32 v4, v[21:22], off offset:644
	ds_load_2addr_b32 v[2:3], v70 offset0:161 offset1:185
	s_wait_dscnt 0x0
	v_lshrrev_b32_e32 v5, 16, v2
	s_wait_loadcnt 0x0
	v_lshrrev_b32_e32 v6, 16, v4
	s_delay_alu instid0(VALU_DEP_1) | instskip(SKIP_1) | instid1(VALU_DEP_2)
	v_mul_f16_e32 v7, v5, v6
	v_mul_f16_e32 v6, v2, v6
	v_fmac_f16_e32 v7, v2, v4
	s_delay_alu instid0(VALU_DEP_2) | instskip(NEXT) | instid1(VALU_DEP_2)
	v_fma_f16 v2, v4, v5, -v6
	v_cvt_f32_f16_e32 v4, v7
	s_delay_alu instid0(VALU_DEP_2) | instskip(NEXT) | instid1(VALU_DEP_2)
	v_cvt_f32_f16_e32 v2, v2
	v_cvt_f64_f32_e32 v[4:5], v4
	s_delay_alu instid0(VALU_DEP_2) | instskip(NEXT) | instid1(VALU_DEP_2)
	v_cvt_f64_f32_e32 v[6:7], v2
	v_mul_f64_e32 v[4:5], s[8:9], v[4:5]
	s_delay_alu instid0(VALU_DEP_2) | instskip(NEXT) | instid1(VALU_DEP_2)
	v_mul_f64_e32 v[6:7], s[8:9], v[6:7]
	v_and_or_b32 v2, 0x1ff, v5, v4
	s_delay_alu instid0(VALU_DEP_2)
	v_and_or_b32 v6, 0x1ff, v7, v6
	v_lshrrev_b32_e32 v4, 8, v5
	v_bfe_u32 v8, v5, 20, 11
	v_lshrrev_b32_e32 v9, 8, v7
	v_cmp_ne_u32_e32 vcc_lo, 0, v2
	v_bfe_u32 v10, v7, 20, 11
	v_lshrrev_b32_e32 v5, 16, v5
	v_sub_nc_u32_e32 v11, 0x3f1, v8
	v_add_nc_u32_e32 v8, 0xfffffc10, v8
	s_wait_alu 0xfffd
	v_cndmask_b32_e64 v2, 0, 1, vcc_lo
	v_cmp_ne_u32_e32 vcc_lo, 0, v6
	v_lshrrev_b32_e32 v7, 16, v7
	s_delay_alu instid0(VALU_DEP_3) | instskip(SKIP_4) | instid1(VALU_DEP_3)
	v_and_or_b32 v2, 0xffe, v4, v2
	s_wait_alu 0xfffd
	v_cndmask_b32_e64 v6, 0, 1, vcc_lo
	v_sub_nc_u32_e32 v4, 0x3f1, v10
	v_add_nc_u32_e32 v10, 0xfffffc10, v10
	v_and_or_b32 v6, 0xffe, v9, v6
	v_med3_i32 v9, v11, 0, 13
	v_or_b32_e32 v11, 0x1000, v2
	v_med3_i32 v4, v4, 0, 13
	s_delay_alu instid0(VALU_DEP_4) | instskip(NEXT) | instid1(VALU_DEP_3)
	v_or_b32_e32 v12, 0x1000, v6
	v_lshrrev_b32_e32 v13, v9, v11
	s_delay_alu instid0(VALU_DEP_2) | instskip(NEXT) | instid1(VALU_DEP_2)
	v_lshrrev_b32_e32 v14, v4, v12
	v_lshlrev_b32_e32 v9, v9, v13
	s_delay_alu instid0(VALU_DEP_2) | instskip(NEXT) | instid1(VALU_DEP_2)
	v_lshlrev_b32_e32 v4, v4, v14
	v_cmp_ne_u32_e32 vcc_lo, v9, v11
	v_lshl_or_b32 v11, v8, 12, v2
	s_wait_alu 0xfffd
	v_cndmask_b32_e64 v9, 0, 1, vcc_lo
	v_cmp_ne_u32_e32 vcc_lo, v4, v12
	v_lshl_or_b32 v12, v10, 12, v6
	s_delay_alu instid0(VALU_DEP_3) | instskip(SKIP_3) | instid1(VALU_DEP_2)
	v_or_b32_e32 v9, v13, v9
	s_wait_alu 0xfffd
	v_cndmask_b32_e64 v4, 0, 1, vcc_lo
	v_cmp_gt_i32_e32 vcc_lo, 1, v8
	v_or_b32_e32 v4, v14, v4
	s_wait_alu 0xfffd
	v_cndmask_b32_e32 v9, v11, v9, vcc_lo
	v_cmp_gt_i32_e32 vcc_lo, 1, v10
	s_wait_alu 0xfffd
	s_delay_alu instid0(VALU_DEP_2) | instskip(SKIP_2) | instid1(VALU_DEP_3)
	v_dual_cndmask_b32 v4, v12, v4 :: v_dual_and_b32 v11, 7, v9
	v_cmp_ne_u32_e32 vcc_lo, 0, v2
	v_lshrrev_b32_e32 v9, 2, v9
	v_cmp_eq_u32_e64 s0, 3, v11
	s_delay_alu instid0(VALU_DEP_4)
	v_and_b32_e32 v12, 7, v4
	s_wait_alu 0xfffd
	v_cndmask_b32_e64 v2, 0, 1, vcc_lo
	v_cmp_ne_u32_e32 vcc_lo, 0, v6
	v_lshrrev_b32_e32 v4, 2, v4
	v_cmp_lt_i32_e64 s1, 5, v12
	v_cmp_eq_u32_e64 s2, 3, v12
	s_wait_alu 0xfffd
	v_cndmask_b32_e64 v6, 0, 1, vcc_lo
	v_cmp_lt_i32_e32 vcc_lo, 5, v11
	v_lshl_or_b32 v2, v2, 9, 0x7c00
	s_delay_alu instid0(VALU_DEP_3)
	v_lshl_or_b32 v6, v6, 9, 0x7c00
	s_or_b32 vcc_lo, s0, vcc_lo
	s_wait_alu 0xfffe
	v_add_co_ci_u32_e32 v9, vcc_lo, 0, v9, vcc_lo
	s_or_b32 vcc_lo, s2, s1
	s_wait_alu 0xfffe
	v_add_co_ci_u32_e32 v4, vcc_lo, 0, v4, vcc_lo
	v_cmp_gt_i32_e32 vcc_lo, 31, v8
	s_wait_alu 0xfffd
	v_cndmask_b32_e32 v9, 0x7c00, v9, vcc_lo
	v_cmp_gt_i32_e32 vcc_lo, 31, v10
	s_wait_alu 0xfffd
	v_cndmask_b32_e32 v4, 0x7c00, v4, vcc_lo
	v_cmp_eq_u32_e32 vcc_lo, 0x40f, v8
	s_wait_alu 0xfffd
	v_cndmask_b32_e32 v2, v9, v2, vcc_lo
	v_cmp_eq_u32_e32 vcc_lo, 0x40f, v10
	s_delay_alu instid0(VALU_DEP_2)
	v_and_or_b32 v2, 0x8000, v5, v2
	s_wait_alu 0xfffd
	v_cndmask_b32_e32 v4, v4, v6, vcc_lo
	v_add_co_u32 v0, vcc_lo, v0, s6
	s_wait_alu 0xfffd
	v_add_co_ci_u32_e32 v1, vcc_lo, s7, v1, vcc_lo
	s_delay_alu instid0(VALU_DEP_3) | instskip(SKIP_1) | instid1(VALU_DEP_1)
	v_and_or_b32 v4, 0x8000, v7, v4
	v_and_b32_e32 v2, 0xffff, v2
	v_lshl_or_b32 v2, v4, 16, v2
	v_lshrrev_b32_e32 v4, 16, v3
	global_store_b32 v[0:1], v2, off
	global_load_b32 v2, v[21:22], off offset:740
	s_wait_loadcnt 0x0
	v_lshrrev_b32_e32 v5, 16, v2
	s_delay_alu instid0(VALU_DEP_1) | instskip(SKIP_1) | instid1(VALU_DEP_2)
	v_mul_f16_e32 v6, v4, v5
	v_mul_f16_e32 v5, v3, v5
	v_fmac_f16_e32 v6, v3, v2
	s_delay_alu instid0(VALU_DEP_2) | instskip(NEXT) | instid1(VALU_DEP_2)
	v_fma_f16 v2, v2, v4, -v5
	v_cvt_f32_f16_e32 v3, v6
	s_delay_alu instid0(VALU_DEP_2) | instskip(NEXT) | instid1(VALU_DEP_2)
	v_cvt_f32_f16_e32 v4, v2
	v_cvt_f64_f32_e32 v[2:3], v3
	s_delay_alu instid0(VALU_DEP_2) | instskip(NEXT) | instid1(VALU_DEP_2)
	v_cvt_f64_f32_e32 v[4:5], v4
	v_mul_f64_e32 v[2:3], s[8:9], v[2:3]
	s_delay_alu instid0(VALU_DEP_2) | instskip(NEXT) | instid1(VALU_DEP_2)
	v_mul_f64_e32 v[4:5], s[8:9], v[4:5]
	v_and_or_b32 v2, 0x1ff, v3, v2
	s_delay_alu instid0(VALU_DEP_2)
	v_and_or_b32 v4, 0x1ff, v5, v4
	v_lshrrev_b32_e32 v6, 8, v3
	v_bfe_u32 v7, v3, 20, 11
	v_lshrrev_b32_e32 v8, 8, v5
	v_cmp_ne_u32_e32 vcc_lo, 0, v2
	v_bfe_u32 v9, v5, 20, 11
	v_lshrrev_b32_e32 v3, 16, v3
	v_sub_nc_u32_e32 v10, 0x3f1, v7
	v_add_nc_u32_e32 v7, 0xfffffc10, v7
	s_wait_alu 0xfffd
	v_cndmask_b32_e64 v2, 0, 1, vcc_lo
	v_cmp_ne_u32_e32 vcc_lo, 0, v4
	v_lshrrev_b32_e32 v5, 16, v5
	s_delay_alu instid0(VALU_DEP_3) | instskip(SKIP_4) | instid1(VALU_DEP_3)
	v_and_or_b32 v2, 0xffe, v6, v2
	s_wait_alu 0xfffd
	v_cndmask_b32_e64 v4, 0, 1, vcc_lo
	v_sub_nc_u32_e32 v6, 0x3f1, v9
	v_add_nc_u32_e32 v9, 0xfffffc10, v9
	v_and_or_b32 v4, 0xffe, v8, v4
	v_med3_i32 v8, v10, 0, 13
	v_or_b32_e32 v10, 0x1000, v2
	v_med3_i32 v6, v6, 0, 13
	s_delay_alu instid0(VALU_DEP_4) | instskip(NEXT) | instid1(VALU_DEP_3)
	v_or_b32_e32 v11, 0x1000, v4
	v_lshrrev_b32_e32 v12, v8, v10
	s_delay_alu instid0(VALU_DEP_2) | instskip(NEXT) | instid1(VALU_DEP_2)
	v_lshrrev_b32_e32 v13, v6, v11
	v_lshlrev_b32_e32 v8, v8, v12
	s_delay_alu instid0(VALU_DEP_2) | instskip(NEXT) | instid1(VALU_DEP_2)
	v_lshlrev_b32_e32 v6, v6, v13
	v_cmp_ne_u32_e32 vcc_lo, v8, v10
	v_lshl_or_b32 v10, v7, 12, v2
	s_wait_alu 0xfffd
	v_cndmask_b32_e64 v8, 0, 1, vcc_lo
	v_cmp_ne_u32_e32 vcc_lo, v6, v11
	v_lshl_or_b32 v11, v9, 12, v4
	s_delay_alu instid0(VALU_DEP_3) | instskip(SKIP_3) | instid1(VALU_DEP_2)
	v_or_b32_e32 v8, v12, v8
	s_wait_alu 0xfffd
	v_cndmask_b32_e64 v6, 0, 1, vcc_lo
	v_cmp_gt_i32_e32 vcc_lo, 1, v7
	v_or_b32_e32 v6, v13, v6
	s_wait_alu 0xfffd
	v_cndmask_b32_e32 v8, v10, v8, vcc_lo
	v_cmp_gt_i32_e32 vcc_lo, 1, v9
	s_delay_alu instid0(VALU_DEP_2)
	v_and_b32_e32 v10, 7, v8
	s_wait_alu 0xfffd
	v_cndmask_b32_e32 v6, v11, v6, vcc_lo
	v_cmp_ne_u32_e32 vcc_lo, 0, v2
	v_lshrrev_b32_e32 v8, 2, v8
	v_cmp_eq_u32_e64 s0, 3, v10
	s_delay_alu instid0(VALU_DEP_4)
	v_and_b32_e32 v11, 7, v6
	s_wait_alu 0xfffd
	v_cndmask_b32_e64 v2, 0, 1, vcc_lo
	v_cmp_ne_u32_e32 vcc_lo, 0, v4
	v_lshrrev_b32_e32 v6, 2, v6
	v_cmp_lt_i32_e64 s1, 5, v11
	v_cmp_eq_u32_e64 s2, 3, v11
	s_wait_alu 0xfffd
	v_cndmask_b32_e64 v4, 0, 1, vcc_lo
	v_cmp_lt_i32_e32 vcc_lo, 5, v10
	v_lshl_or_b32 v2, v2, 9, 0x7c00
	s_delay_alu instid0(VALU_DEP_3)
	v_lshl_or_b32 v4, v4, 9, 0x7c00
	s_or_b32 vcc_lo, s0, vcc_lo
	s_wait_alu 0xfffe
	v_add_co_ci_u32_e32 v8, vcc_lo, 0, v8, vcc_lo
	s_or_b32 vcc_lo, s2, s1
	s_wait_alu 0xfffe
	v_add_co_ci_u32_e32 v6, vcc_lo, 0, v6, vcc_lo
	v_cmp_gt_i32_e32 vcc_lo, 31, v7
	s_wait_alu 0xfffd
	v_cndmask_b32_e32 v8, 0x7c00, v8, vcc_lo
	v_cmp_gt_i32_e32 vcc_lo, 31, v9
	s_wait_alu 0xfffd
	v_cndmask_b32_e32 v6, 0x7c00, v6, vcc_lo
	v_cmp_eq_u32_e32 vcc_lo, 0x40f, v7
	s_wait_alu 0xfffd
	v_cndmask_b32_e32 v2, v8, v2, vcc_lo
	v_cmp_eq_u32_e32 vcc_lo, 0x40f, v9
	s_delay_alu instid0(VALU_DEP_2)
	v_and_or_b32 v2, 0x8000, v3, v2
	s_wait_alu 0xfffd
	v_cndmask_b32_e32 v4, v6, v4, vcc_lo
	v_add_co_u32 v0, vcc_lo, v0, s6
	s_wait_alu 0xfffd
	v_add_co_ci_u32_e32 v1, vcc_lo, s7, v1, vcc_lo
	s_delay_alu instid0(VALU_DEP_3) | instskip(SKIP_1) | instid1(VALU_DEP_1)
	v_and_or_b32 v3, 0x8000, v5, v4
	v_and_b32_e32 v2, 0xffff, v2
	v_lshl_or_b32 v2, v3, 16, v2
	global_store_b32 v[0:1], v2, off
	global_load_b32 v4, v[21:22], off offset:836
	ds_load_2addr_b32 v[2:3], v70 offset0:209 offset1:233
	s_wait_dscnt 0x0
	v_lshrrev_b32_e32 v5, 16, v2
	s_wait_loadcnt 0x0
	v_lshrrev_b32_e32 v6, 16, v4
	s_delay_alu instid0(VALU_DEP_1) | instskip(SKIP_1) | instid1(VALU_DEP_2)
	v_mul_f16_e32 v7, v5, v6
	v_mul_f16_e32 v6, v2, v6
	v_fmac_f16_e32 v7, v2, v4
	s_delay_alu instid0(VALU_DEP_2) | instskip(NEXT) | instid1(VALU_DEP_2)
	v_fma_f16 v2, v4, v5, -v6
	v_cvt_f32_f16_e32 v4, v7
	s_delay_alu instid0(VALU_DEP_2) | instskip(NEXT) | instid1(VALU_DEP_2)
	v_cvt_f32_f16_e32 v2, v2
	v_cvt_f64_f32_e32 v[4:5], v4
	s_delay_alu instid0(VALU_DEP_2) | instskip(NEXT) | instid1(VALU_DEP_2)
	v_cvt_f64_f32_e32 v[6:7], v2
	v_mul_f64_e32 v[4:5], s[8:9], v[4:5]
	s_delay_alu instid0(VALU_DEP_2) | instskip(NEXT) | instid1(VALU_DEP_2)
	v_mul_f64_e32 v[6:7], s[8:9], v[6:7]
	v_and_or_b32 v2, 0x1ff, v5, v4
	s_delay_alu instid0(VALU_DEP_2)
	v_and_or_b32 v6, 0x1ff, v7, v6
	v_lshrrev_b32_e32 v4, 8, v5
	v_bfe_u32 v8, v5, 20, 11
	v_lshrrev_b32_e32 v9, 8, v7
	v_cmp_ne_u32_e32 vcc_lo, 0, v2
	v_bfe_u32 v10, v7, 20, 11
	v_lshrrev_b32_e32 v5, 16, v5
	v_sub_nc_u32_e32 v11, 0x3f1, v8
	v_add_nc_u32_e32 v8, 0xfffffc10, v8
	s_wait_alu 0xfffd
	v_cndmask_b32_e64 v2, 0, 1, vcc_lo
	v_cmp_ne_u32_e32 vcc_lo, 0, v6
	v_lshrrev_b32_e32 v7, 16, v7
	s_delay_alu instid0(VALU_DEP_3) | instskip(SKIP_4) | instid1(VALU_DEP_3)
	v_and_or_b32 v2, 0xffe, v4, v2
	s_wait_alu 0xfffd
	v_cndmask_b32_e64 v6, 0, 1, vcc_lo
	v_sub_nc_u32_e32 v4, 0x3f1, v10
	v_add_nc_u32_e32 v10, 0xfffffc10, v10
	v_and_or_b32 v6, 0xffe, v9, v6
	v_med3_i32 v9, v11, 0, 13
	v_or_b32_e32 v11, 0x1000, v2
	v_med3_i32 v4, v4, 0, 13
	s_delay_alu instid0(VALU_DEP_4) | instskip(NEXT) | instid1(VALU_DEP_3)
	v_or_b32_e32 v12, 0x1000, v6
	v_lshrrev_b32_e32 v13, v9, v11
	s_delay_alu instid0(VALU_DEP_2) | instskip(NEXT) | instid1(VALU_DEP_2)
	v_lshrrev_b32_e32 v14, v4, v12
	v_lshlrev_b32_e32 v9, v9, v13
	s_delay_alu instid0(VALU_DEP_2) | instskip(NEXT) | instid1(VALU_DEP_2)
	v_lshlrev_b32_e32 v4, v4, v14
	v_cmp_ne_u32_e32 vcc_lo, v9, v11
	v_lshl_or_b32 v11, v8, 12, v2
	s_wait_alu 0xfffd
	v_cndmask_b32_e64 v9, 0, 1, vcc_lo
	v_cmp_ne_u32_e32 vcc_lo, v4, v12
	v_lshl_or_b32 v12, v10, 12, v6
	s_delay_alu instid0(VALU_DEP_3) | instskip(SKIP_3) | instid1(VALU_DEP_2)
	v_or_b32_e32 v9, v13, v9
	s_wait_alu 0xfffd
	v_cndmask_b32_e64 v4, 0, 1, vcc_lo
	v_cmp_gt_i32_e32 vcc_lo, 1, v8
	v_or_b32_e32 v4, v14, v4
	s_wait_alu 0xfffd
	v_cndmask_b32_e32 v9, v11, v9, vcc_lo
	v_cmp_gt_i32_e32 vcc_lo, 1, v10
	s_wait_alu 0xfffd
	s_delay_alu instid0(VALU_DEP_2) | instskip(SKIP_2) | instid1(VALU_DEP_3)
	v_dual_cndmask_b32 v4, v12, v4 :: v_dual_and_b32 v11, 7, v9
	v_cmp_ne_u32_e32 vcc_lo, 0, v2
	v_lshrrev_b32_e32 v9, 2, v9
	v_cmp_eq_u32_e64 s0, 3, v11
	s_delay_alu instid0(VALU_DEP_4)
	v_and_b32_e32 v12, 7, v4
	s_wait_alu 0xfffd
	v_cndmask_b32_e64 v2, 0, 1, vcc_lo
	v_cmp_ne_u32_e32 vcc_lo, 0, v6
	v_lshrrev_b32_e32 v4, 2, v4
	v_cmp_lt_i32_e64 s1, 5, v12
	v_cmp_eq_u32_e64 s2, 3, v12
	s_wait_alu 0xfffd
	v_cndmask_b32_e64 v6, 0, 1, vcc_lo
	v_cmp_lt_i32_e32 vcc_lo, 5, v11
	v_lshl_or_b32 v2, v2, 9, 0x7c00
	s_delay_alu instid0(VALU_DEP_3)
	v_lshl_or_b32 v6, v6, 9, 0x7c00
	s_or_b32 vcc_lo, s0, vcc_lo
	s_wait_alu 0xfffe
	v_add_co_ci_u32_e32 v9, vcc_lo, 0, v9, vcc_lo
	s_or_b32 vcc_lo, s2, s1
	s_wait_alu 0xfffe
	v_add_co_ci_u32_e32 v4, vcc_lo, 0, v4, vcc_lo
	v_cmp_gt_i32_e32 vcc_lo, 31, v8
	s_wait_alu 0xfffd
	v_cndmask_b32_e32 v9, 0x7c00, v9, vcc_lo
	v_cmp_gt_i32_e32 vcc_lo, 31, v10
	s_wait_alu 0xfffd
	v_cndmask_b32_e32 v4, 0x7c00, v4, vcc_lo
	v_cmp_eq_u32_e32 vcc_lo, 0x40f, v8
	s_wait_alu 0xfffd
	v_cndmask_b32_e32 v2, v9, v2, vcc_lo
	v_cmp_eq_u32_e32 vcc_lo, 0x40f, v10
	s_delay_alu instid0(VALU_DEP_2)
	v_and_or_b32 v2, 0x8000, v5, v2
	s_wait_alu 0xfffd
	v_cndmask_b32_e32 v4, v4, v6, vcc_lo
	v_add_co_u32 v0, vcc_lo, v0, s6
	s_wait_alu 0xfffd
	v_add_co_ci_u32_e32 v1, vcc_lo, s7, v1, vcc_lo
	s_delay_alu instid0(VALU_DEP_3) | instskip(SKIP_1) | instid1(VALU_DEP_1)
	v_and_or_b32 v4, 0x8000, v7, v4
	v_and_b32_e32 v2, 0xffff, v2
	v_lshl_or_b32 v2, v4, 16, v2
	v_lshrrev_b32_e32 v4, 16, v3
	global_store_b32 v[0:1], v2, off
	global_load_b32 v2, v[21:22], off offset:932
	s_wait_loadcnt 0x0
	v_lshrrev_b32_e32 v5, 16, v2
	s_delay_alu instid0(VALU_DEP_1) | instskip(SKIP_1) | instid1(VALU_DEP_2)
	v_mul_f16_e32 v6, v4, v5
	v_mul_f16_e32 v5, v3, v5
	v_fmac_f16_e32 v6, v3, v2
	s_delay_alu instid0(VALU_DEP_2) | instskip(NEXT) | instid1(VALU_DEP_2)
	v_fma_f16 v2, v2, v4, -v5
	v_cvt_f32_f16_e32 v3, v6
	s_delay_alu instid0(VALU_DEP_2) | instskip(NEXT) | instid1(VALU_DEP_2)
	v_cvt_f32_f16_e32 v4, v2
	v_cvt_f64_f32_e32 v[2:3], v3
	s_delay_alu instid0(VALU_DEP_2) | instskip(NEXT) | instid1(VALU_DEP_2)
	v_cvt_f64_f32_e32 v[4:5], v4
	v_mul_f64_e32 v[2:3], s[8:9], v[2:3]
	s_delay_alu instid0(VALU_DEP_2) | instskip(NEXT) | instid1(VALU_DEP_2)
	v_mul_f64_e32 v[4:5], s[8:9], v[4:5]
	v_and_or_b32 v2, 0x1ff, v3, v2
	s_delay_alu instid0(VALU_DEP_2)
	v_and_or_b32 v4, 0x1ff, v5, v4
	v_lshrrev_b32_e32 v6, 8, v3
	v_bfe_u32 v7, v3, 20, 11
	v_lshrrev_b32_e32 v8, 8, v5
	v_cmp_ne_u32_e32 vcc_lo, 0, v2
	v_bfe_u32 v9, v5, 20, 11
	v_lshrrev_b32_e32 v3, 16, v3
	v_sub_nc_u32_e32 v10, 0x3f1, v7
	v_add_nc_u32_e32 v7, 0xfffffc10, v7
	s_wait_alu 0xfffd
	v_cndmask_b32_e64 v2, 0, 1, vcc_lo
	v_cmp_ne_u32_e32 vcc_lo, 0, v4
	v_lshrrev_b32_e32 v5, 16, v5
	s_delay_alu instid0(VALU_DEP_3) | instskip(SKIP_4) | instid1(VALU_DEP_3)
	v_and_or_b32 v2, 0xffe, v6, v2
	s_wait_alu 0xfffd
	v_cndmask_b32_e64 v4, 0, 1, vcc_lo
	v_sub_nc_u32_e32 v6, 0x3f1, v9
	v_add_nc_u32_e32 v9, 0xfffffc10, v9
	v_and_or_b32 v4, 0xffe, v8, v4
	v_med3_i32 v8, v10, 0, 13
	v_or_b32_e32 v10, 0x1000, v2
	v_med3_i32 v6, v6, 0, 13
	s_delay_alu instid0(VALU_DEP_4) | instskip(NEXT) | instid1(VALU_DEP_3)
	v_or_b32_e32 v11, 0x1000, v4
	v_lshrrev_b32_e32 v12, v8, v10
	s_delay_alu instid0(VALU_DEP_2) | instskip(NEXT) | instid1(VALU_DEP_2)
	v_lshrrev_b32_e32 v13, v6, v11
	v_lshlrev_b32_e32 v8, v8, v12
	s_delay_alu instid0(VALU_DEP_2) | instskip(NEXT) | instid1(VALU_DEP_2)
	v_lshlrev_b32_e32 v6, v6, v13
	v_cmp_ne_u32_e32 vcc_lo, v8, v10
	v_lshl_or_b32 v10, v7, 12, v2
	s_wait_alu 0xfffd
	v_cndmask_b32_e64 v8, 0, 1, vcc_lo
	v_cmp_ne_u32_e32 vcc_lo, v6, v11
	v_lshl_or_b32 v11, v9, 12, v4
	s_delay_alu instid0(VALU_DEP_3) | instskip(SKIP_3) | instid1(VALU_DEP_2)
	v_or_b32_e32 v8, v12, v8
	s_wait_alu 0xfffd
	v_cndmask_b32_e64 v6, 0, 1, vcc_lo
	v_cmp_gt_i32_e32 vcc_lo, 1, v7
	v_or_b32_e32 v6, v13, v6
	s_wait_alu 0xfffd
	v_cndmask_b32_e32 v8, v10, v8, vcc_lo
	v_cmp_gt_i32_e32 vcc_lo, 1, v9
	s_delay_alu instid0(VALU_DEP_2)
	v_and_b32_e32 v10, 7, v8
	s_wait_alu 0xfffd
	v_cndmask_b32_e32 v6, v11, v6, vcc_lo
	v_cmp_ne_u32_e32 vcc_lo, 0, v2
	v_lshrrev_b32_e32 v8, 2, v8
	v_cmp_eq_u32_e64 s0, 3, v10
	s_delay_alu instid0(VALU_DEP_4)
	v_and_b32_e32 v11, 7, v6
	s_wait_alu 0xfffd
	v_cndmask_b32_e64 v2, 0, 1, vcc_lo
	v_cmp_ne_u32_e32 vcc_lo, 0, v4
	v_lshrrev_b32_e32 v6, 2, v6
	v_cmp_lt_i32_e64 s1, 5, v11
	v_cmp_eq_u32_e64 s2, 3, v11
	s_wait_alu 0xfffd
	v_cndmask_b32_e64 v4, 0, 1, vcc_lo
	v_cmp_lt_i32_e32 vcc_lo, 5, v10
	v_lshl_or_b32 v2, v2, 9, 0x7c00
	s_delay_alu instid0(VALU_DEP_3)
	v_lshl_or_b32 v4, v4, 9, 0x7c00
	s_or_b32 vcc_lo, s0, vcc_lo
	s_wait_alu 0xfffe
	v_add_co_ci_u32_e32 v8, vcc_lo, 0, v8, vcc_lo
	s_or_b32 vcc_lo, s2, s1
	s_wait_alu 0xfffe
	v_add_co_ci_u32_e32 v6, vcc_lo, 0, v6, vcc_lo
	v_cmp_gt_i32_e32 vcc_lo, 31, v7
	s_wait_alu 0xfffd
	v_cndmask_b32_e32 v8, 0x7c00, v8, vcc_lo
	v_cmp_gt_i32_e32 vcc_lo, 31, v9
	s_wait_alu 0xfffd
	v_cndmask_b32_e32 v6, 0x7c00, v6, vcc_lo
	v_cmp_eq_u32_e32 vcc_lo, 0x40f, v7
	s_wait_alu 0xfffd
	v_cndmask_b32_e32 v2, v8, v2, vcc_lo
	v_cmp_eq_u32_e32 vcc_lo, 0x40f, v9
	s_delay_alu instid0(VALU_DEP_2)
	v_and_or_b32 v2, 0x8000, v3, v2
	s_wait_alu 0xfffd
	v_cndmask_b32_e32 v4, v6, v4, vcc_lo
	v_add_co_u32 v0, vcc_lo, v0, s6
	s_wait_alu 0xfffd
	v_add_co_ci_u32_e32 v1, vcc_lo, s7, v1, vcc_lo
	s_delay_alu instid0(VALU_DEP_3) | instskip(SKIP_1) | instid1(VALU_DEP_1)
	v_and_or_b32 v3, 0x8000, v5, v4
	v_and_b32_e32 v2, 0xffff, v2
	v_lshl_or_b32 v2, v3, 16, v2
	global_store_b32 v[0:1], v2, off
	global_load_b32 v4, v[21:22], off offset:1028
	ds_load_2addr_b32 v[2:3], v24 offset0:1 offset1:25
	s_wait_dscnt 0x0
	v_lshrrev_b32_e32 v5, 16, v2
	s_wait_loadcnt 0x0
	v_lshrrev_b32_e32 v6, 16, v4
	s_delay_alu instid0(VALU_DEP_1) | instskip(SKIP_1) | instid1(VALU_DEP_2)
	v_mul_f16_e32 v7, v5, v6
	v_mul_f16_e32 v6, v2, v6
	v_fmac_f16_e32 v7, v2, v4
	s_delay_alu instid0(VALU_DEP_2) | instskip(NEXT) | instid1(VALU_DEP_2)
	v_fma_f16 v2, v4, v5, -v6
	v_cvt_f32_f16_e32 v4, v7
	s_delay_alu instid0(VALU_DEP_2) | instskip(NEXT) | instid1(VALU_DEP_2)
	v_cvt_f32_f16_e32 v2, v2
	v_cvt_f64_f32_e32 v[4:5], v4
	s_delay_alu instid0(VALU_DEP_2) | instskip(NEXT) | instid1(VALU_DEP_2)
	v_cvt_f64_f32_e32 v[6:7], v2
	v_mul_f64_e32 v[4:5], s[8:9], v[4:5]
	s_delay_alu instid0(VALU_DEP_2) | instskip(NEXT) | instid1(VALU_DEP_2)
	v_mul_f64_e32 v[6:7], s[8:9], v[6:7]
	v_and_or_b32 v2, 0x1ff, v5, v4
	s_delay_alu instid0(VALU_DEP_2)
	v_and_or_b32 v6, 0x1ff, v7, v6
	v_lshrrev_b32_e32 v4, 8, v5
	v_bfe_u32 v8, v5, 20, 11
	v_lshrrev_b32_e32 v9, 8, v7
	v_cmp_ne_u32_e32 vcc_lo, 0, v2
	v_bfe_u32 v10, v7, 20, 11
	v_lshrrev_b32_e32 v5, 16, v5
	v_sub_nc_u32_e32 v11, 0x3f1, v8
	v_add_nc_u32_e32 v8, 0xfffffc10, v8
	s_wait_alu 0xfffd
	v_cndmask_b32_e64 v2, 0, 1, vcc_lo
	v_cmp_ne_u32_e32 vcc_lo, 0, v6
	v_lshrrev_b32_e32 v7, 16, v7
	s_delay_alu instid0(VALU_DEP_3) | instskip(SKIP_4) | instid1(VALU_DEP_3)
	v_and_or_b32 v2, 0xffe, v4, v2
	s_wait_alu 0xfffd
	v_cndmask_b32_e64 v6, 0, 1, vcc_lo
	v_sub_nc_u32_e32 v4, 0x3f1, v10
	v_add_nc_u32_e32 v10, 0xfffffc10, v10
	v_and_or_b32 v6, 0xffe, v9, v6
	v_med3_i32 v9, v11, 0, 13
	v_or_b32_e32 v11, 0x1000, v2
	v_med3_i32 v4, v4, 0, 13
	s_delay_alu instid0(VALU_DEP_4) | instskip(NEXT) | instid1(VALU_DEP_3)
	v_or_b32_e32 v12, 0x1000, v6
	v_lshrrev_b32_e32 v13, v9, v11
	s_delay_alu instid0(VALU_DEP_2) | instskip(NEXT) | instid1(VALU_DEP_2)
	v_lshrrev_b32_e32 v14, v4, v12
	v_lshlrev_b32_e32 v9, v9, v13
	s_delay_alu instid0(VALU_DEP_2) | instskip(NEXT) | instid1(VALU_DEP_2)
	v_lshlrev_b32_e32 v4, v4, v14
	v_cmp_ne_u32_e32 vcc_lo, v9, v11
	v_lshl_or_b32 v11, v8, 12, v2
	s_wait_alu 0xfffd
	v_cndmask_b32_e64 v9, 0, 1, vcc_lo
	v_cmp_ne_u32_e32 vcc_lo, v4, v12
	v_lshl_or_b32 v12, v10, 12, v6
	s_delay_alu instid0(VALU_DEP_3) | instskip(SKIP_3) | instid1(VALU_DEP_2)
	v_or_b32_e32 v9, v13, v9
	s_wait_alu 0xfffd
	v_cndmask_b32_e64 v4, 0, 1, vcc_lo
	v_cmp_gt_i32_e32 vcc_lo, 1, v8
	v_or_b32_e32 v4, v14, v4
	s_wait_alu 0xfffd
	v_cndmask_b32_e32 v9, v11, v9, vcc_lo
	v_cmp_gt_i32_e32 vcc_lo, 1, v10
	s_wait_alu 0xfffd
	s_delay_alu instid0(VALU_DEP_2) | instskip(SKIP_2) | instid1(VALU_DEP_3)
	v_dual_cndmask_b32 v4, v12, v4 :: v_dual_and_b32 v11, 7, v9
	v_cmp_ne_u32_e32 vcc_lo, 0, v2
	v_lshrrev_b32_e32 v9, 2, v9
	v_cmp_eq_u32_e64 s0, 3, v11
	s_delay_alu instid0(VALU_DEP_4)
	v_and_b32_e32 v12, 7, v4
	s_wait_alu 0xfffd
	v_cndmask_b32_e64 v2, 0, 1, vcc_lo
	v_cmp_ne_u32_e32 vcc_lo, 0, v6
	v_lshrrev_b32_e32 v4, 2, v4
	v_cmp_lt_i32_e64 s1, 5, v12
	v_cmp_eq_u32_e64 s2, 3, v12
	s_wait_alu 0xfffd
	v_cndmask_b32_e64 v6, 0, 1, vcc_lo
	v_cmp_lt_i32_e32 vcc_lo, 5, v11
	v_lshl_or_b32 v2, v2, 9, 0x7c00
	s_delay_alu instid0(VALU_DEP_3)
	v_lshl_or_b32 v6, v6, 9, 0x7c00
	s_or_b32 vcc_lo, s0, vcc_lo
	s_wait_alu 0xfffe
	v_add_co_ci_u32_e32 v9, vcc_lo, 0, v9, vcc_lo
	s_or_b32 vcc_lo, s2, s1
	s_wait_alu 0xfffe
	v_add_co_ci_u32_e32 v4, vcc_lo, 0, v4, vcc_lo
	v_cmp_gt_i32_e32 vcc_lo, 31, v8
	s_wait_alu 0xfffd
	v_cndmask_b32_e32 v9, 0x7c00, v9, vcc_lo
	v_cmp_gt_i32_e32 vcc_lo, 31, v10
	s_wait_alu 0xfffd
	v_cndmask_b32_e32 v4, 0x7c00, v4, vcc_lo
	v_cmp_eq_u32_e32 vcc_lo, 0x40f, v8
	s_wait_alu 0xfffd
	v_cndmask_b32_e32 v2, v9, v2, vcc_lo
	v_cmp_eq_u32_e32 vcc_lo, 0x40f, v10
	s_delay_alu instid0(VALU_DEP_2)
	v_and_or_b32 v2, 0x8000, v5, v2
	s_wait_alu 0xfffd
	v_cndmask_b32_e32 v4, v4, v6, vcc_lo
	v_add_co_u32 v0, vcc_lo, v0, s6
	s_wait_alu 0xfffd
	v_add_co_ci_u32_e32 v1, vcc_lo, s7, v1, vcc_lo
	s_delay_alu instid0(VALU_DEP_3) | instskip(SKIP_1) | instid1(VALU_DEP_1)
	v_and_or_b32 v4, 0x8000, v7, v4
	v_and_b32_e32 v2, 0xffff, v2
	v_lshl_or_b32 v2, v4, 16, v2
	v_lshrrev_b32_e32 v4, 16, v3
	global_store_b32 v[0:1], v2, off
	global_load_b32 v2, v[21:22], off offset:1124
	s_wait_loadcnt 0x0
	v_lshrrev_b32_e32 v5, 16, v2
	s_delay_alu instid0(VALU_DEP_1) | instskip(SKIP_1) | instid1(VALU_DEP_2)
	v_mul_f16_e32 v6, v4, v5
	v_mul_f16_e32 v5, v3, v5
	v_fmac_f16_e32 v6, v3, v2
	s_delay_alu instid0(VALU_DEP_2) | instskip(NEXT) | instid1(VALU_DEP_2)
	v_fma_f16 v2, v2, v4, -v5
	v_cvt_f32_f16_e32 v3, v6
	s_delay_alu instid0(VALU_DEP_2) | instskip(NEXT) | instid1(VALU_DEP_2)
	v_cvt_f32_f16_e32 v4, v2
	v_cvt_f64_f32_e32 v[2:3], v3
	s_delay_alu instid0(VALU_DEP_2) | instskip(NEXT) | instid1(VALU_DEP_2)
	v_cvt_f64_f32_e32 v[4:5], v4
	v_mul_f64_e32 v[2:3], s[8:9], v[2:3]
	s_delay_alu instid0(VALU_DEP_2) | instskip(NEXT) | instid1(VALU_DEP_2)
	v_mul_f64_e32 v[4:5], s[8:9], v[4:5]
	v_and_or_b32 v2, 0x1ff, v3, v2
	s_delay_alu instid0(VALU_DEP_2)
	v_and_or_b32 v4, 0x1ff, v5, v4
	v_lshrrev_b32_e32 v6, 8, v3
	v_bfe_u32 v7, v3, 20, 11
	v_lshrrev_b32_e32 v8, 8, v5
	v_cmp_ne_u32_e32 vcc_lo, 0, v2
	v_bfe_u32 v9, v5, 20, 11
	v_lshrrev_b32_e32 v3, 16, v3
	v_sub_nc_u32_e32 v10, 0x3f1, v7
	v_add_nc_u32_e32 v7, 0xfffffc10, v7
	s_wait_alu 0xfffd
	v_cndmask_b32_e64 v2, 0, 1, vcc_lo
	v_cmp_ne_u32_e32 vcc_lo, 0, v4
	v_lshrrev_b32_e32 v5, 16, v5
	s_delay_alu instid0(VALU_DEP_3) | instskip(SKIP_4) | instid1(VALU_DEP_3)
	v_and_or_b32 v2, 0xffe, v6, v2
	s_wait_alu 0xfffd
	v_cndmask_b32_e64 v4, 0, 1, vcc_lo
	v_sub_nc_u32_e32 v6, 0x3f1, v9
	v_add_nc_u32_e32 v9, 0xfffffc10, v9
	v_and_or_b32 v4, 0xffe, v8, v4
	v_med3_i32 v8, v10, 0, 13
	v_or_b32_e32 v10, 0x1000, v2
	v_med3_i32 v6, v6, 0, 13
	s_delay_alu instid0(VALU_DEP_4) | instskip(NEXT) | instid1(VALU_DEP_3)
	v_or_b32_e32 v11, 0x1000, v4
	v_lshrrev_b32_e32 v12, v8, v10
	s_delay_alu instid0(VALU_DEP_2) | instskip(NEXT) | instid1(VALU_DEP_2)
	v_lshrrev_b32_e32 v13, v6, v11
	v_lshlrev_b32_e32 v8, v8, v12
	s_delay_alu instid0(VALU_DEP_2) | instskip(NEXT) | instid1(VALU_DEP_2)
	v_lshlrev_b32_e32 v6, v6, v13
	v_cmp_ne_u32_e32 vcc_lo, v8, v10
	v_lshl_or_b32 v10, v7, 12, v2
	s_wait_alu 0xfffd
	v_cndmask_b32_e64 v8, 0, 1, vcc_lo
	v_cmp_ne_u32_e32 vcc_lo, v6, v11
	v_lshl_or_b32 v11, v9, 12, v4
	s_delay_alu instid0(VALU_DEP_3) | instskip(SKIP_3) | instid1(VALU_DEP_2)
	v_or_b32_e32 v8, v12, v8
	s_wait_alu 0xfffd
	v_cndmask_b32_e64 v6, 0, 1, vcc_lo
	v_cmp_gt_i32_e32 vcc_lo, 1, v7
	v_or_b32_e32 v6, v13, v6
	s_wait_alu 0xfffd
	v_cndmask_b32_e32 v8, v10, v8, vcc_lo
	v_cmp_gt_i32_e32 vcc_lo, 1, v9
	s_delay_alu instid0(VALU_DEP_2)
	v_and_b32_e32 v10, 7, v8
	s_wait_alu 0xfffd
	v_cndmask_b32_e32 v6, v11, v6, vcc_lo
	v_cmp_ne_u32_e32 vcc_lo, 0, v2
	v_lshrrev_b32_e32 v8, 2, v8
	v_cmp_eq_u32_e64 s0, 3, v10
	s_delay_alu instid0(VALU_DEP_4)
	v_and_b32_e32 v11, 7, v6
	s_wait_alu 0xfffd
	v_cndmask_b32_e64 v2, 0, 1, vcc_lo
	v_cmp_ne_u32_e32 vcc_lo, 0, v4
	v_lshrrev_b32_e32 v6, 2, v6
	v_cmp_lt_i32_e64 s1, 5, v11
	v_cmp_eq_u32_e64 s2, 3, v11
	s_wait_alu 0xfffd
	v_cndmask_b32_e64 v4, 0, 1, vcc_lo
	v_cmp_lt_i32_e32 vcc_lo, 5, v10
	v_lshl_or_b32 v2, v2, 9, 0x7c00
	s_delay_alu instid0(VALU_DEP_3)
	v_lshl_or_b32 v4, v4, 9, 0x7c00
	s_or_b32 vcc_lo, s0, vcc_lo
	s_wait_alu 0xfffe
	v_add_co_ci_u32_e32 v8, vcc_lo, 0, v8, vcc_lo
	s_or_b32 vcc_lo, s2, s1
	s_wait_alu 0xfffe
	v_add_co_ci_u32_e32 v6, vcc_lo, 0, v6, vcc_lo
	v_cmp_gt_i32_e32 vcc_lo, 31, v7
	s_wait_alu 0xfffd
	v_cndmask_b32_e32 v8, 0x7c00, v8, vcc_lo
	v_cmp_gt_i32_e32 vcc_lo, 31, v9
	s_wait_alu 0xfffd
	v_cndmask_b32_e32 v6, 0x7c00, v6, vcc_lo
	v_cmp_eq_u32_e32 vcc_lo, 0x40f, v7
	s_wait_alu 0xfffd
	v_cndmask_b32_e32 v2, v8, v2, vcc_lo
	v_cmp_eq_u32_e32 vcc_lo, 0x40f, v9
	s_delay_alu instid0(VALU_DEP_2)
	v_and_or_b32 v2, 0x8000, v3, v2
	s_wait_alu 0xfffd
	v_cndmask_b32_e32 v4, v6, v4, vcc_lo
	v_add_co_u32 v0, vcc_lo, v0, s6
	s_wait_alu 0xfffd
	v_add_co_ci_u32_e32 v1, vcc_lo, s7, v1, vcc_lo
	s_delay_alu instid0(VALU_DEP_3) | instskip(SKIP_1) | instid1(VALU_DEP_1)
	v_and_or_b32 v3, 0x8000, v5, v4
	v_and_b32_e32 v2, 0xffff, v2
	v_lshl_or_b32 v2, v3, 16, v2
	global_store_b32 v[0:1], v2, off
	global_load_b32 v4, v[21:22], off offset:1220
	ds_load_2addr_b32 v[2:3], v24 offset0:49 offset1:73
	s_wait_dscnt 0x0
	v_lshrrev_b32_e32 v5, 16, v2
	s_wait_loadcnt 0x0
	v_lshrrev_b32_e32 v6, 16, v4
	s_delay_alu instid0(VALU_DEP_1) | instskip(SKIP_1) | instid1(VALU_DEP_2)
	v_mul_f16_e32 v7, v5, v6
	v_mul_f16_e32 v6, v2, v6
	v_fmac_f16_e32 v7, v2, v4
	s_delay_alu instid0(VALU_DEP_2) | instskip(NEXT) | instid1(VALU_DEP_2)
	v_fma_f16 v2, v4, v5, -v6
	v_cvt_f32_f16_e32 v4, v7
	s_delay_alu instid0(VALU_DEP_2) | instskip(NEXT) | instid1(VALU_DEP_2)
	v_cvt_f32_f16_e32 v2, v2
	v_cvt_f64_f32_e32 v[4:5], v4
	s_delay_alu instid0(VALU_DEP_2) | instskip(NEXT) | instid1(VALU_DEP_2)
	v_cvt_f64_f32_e32 v[6:7], v2
	v_mul_f64_e32 v[4:5], s[8:9], v[4:5]
	s_delay_alu instid0(VALU_DEP_2) | instskip(NEXT) | instid1(VALU_DEP_2)
	v_mul_f64_e32 v[6:7], s[8:9], v[6:7]
	v_and_or_b32 v2, 0x1ff, v5, v4
	s_delay_alu instid0(VALU_DEP_2)
	v_and_or_b32 v6, 0x1ff, v7, v6
	v_lshrrev_b32_e32 v4, 8, v5
	v_bfe_u32 v8, v5, 20, 11
	v_lshrrev_b32_e32 v9, 8, v7
	v_cmp_ne_u32_e32 vcc_lo, 0, v2
	v_bfe_u32 v10, v7, 20, 11
	v_lshrrev_b32_e32 v5, 16, v5
	v_sub_nc_u32_e32 v11, 0x3f1, v8
	v_add_nc_u32_e32 v8, 0xfffffc10, v8
	s_wait_alu 0xfffd
	v_cndmask_b32_e64 v2, 0, 1, vcc_lo
	v_cmp_ne_u32_e32 vcc_lo, 0, v6
	v_lshrrev_b32_e32 v7, 16, v7
	s_delay_alu instid0(VALU_DEP_3) | instskip(SKIP_4) | instid1(VALU_DEP_3)
	v_and_or_b32 v2, 0xffe, v4, v2
	s_wait_alu 0xfffd
	v_cndmask_b32_e64 v6, 0, 1, vcc_lo
	v_sub_nc_u32_e32 v4, 0x3f1, v10
	v_add_nc_u32_e32 v10, 0xfffffc10, v10
	v_and_or_b32 v6, 0xffe, v9, v6
	v_med3_i32 v9, v11, 0, 13
	v_or_b32_e32 v11, 0x1000, v2
	v_med3_i32 v4, v4, 0, 13
	s_delay_alu instid0(VALU_DEP_4) | instskip(NEXT) | instid1(VALU_DEP_3)
	v_or_b32_e32 v12, 0x1000, v6
	v_lshrrev_b32_e32 v13, v9, v11
	s_delay_alu instid0(VALU_DEP_2) | instskip(NEXT) | instid1(VALU_DEP_2)
	v_lshrrev_b32_e32 v14, v4, v12
	v_lshlrev_b32_e32 v9, v9, v13
	s_delay_alu instid0(VALU_DEP_2) | instskip(NEXT) | instid1(VALU_DEP_2)
	v_lshlrev_b32_e32 v4, v4, v14
	v_cmp_ne_u32_e32 vcc_lo, v9, v11
	v_lshl_or_b32 v11, v8, 12, v2
	s_wait_alu 0xfffd
	v_cndmask_b32_e64 v9, 0, 1, vcc_lo
	v_cmp_ne_u32_e32 vcc_lo, v4, v12
	v_lshl_or_b32 v12, v10, 12, v6
	s_delay_alu instid0(VALU_DEP_3) | instskip(SKIP_3) | instid1(VALU_DEP_2)
	v_or_b32_e32 v9, v13, v9
	s_wait_alu 0xfffd
	v_cndmask_b32_e64 v4, 0, 1, vcc_lo
	v_cmp_gt_i32_e32 vcc_lo, 1, v8
	v_or_b32_e32 v4, v14, v4
	s_wait_alu 0xfffd
	v_cndmask_b32_e32 v9, v11, v9, vcc_lo
	v_cmp_gt_i32_e32 vcc_lo, 1, v10
	s_wait_alu 0xfffd
	s_delay_alu instid0(VALU_DEP_2) | instskip(SKIP_2) | instid1(VALU_DEP_3)
	v_dual_cndmask_b32 v4, v12, v4 :: v_dual_and_b32 v11, 7, v9
	v_cmp_ne_u32_e32 vcc_lo, 0, v2
	v_lshrrev_b32_e32 v9, 2, v9
	v_cmp_eq_u32_e64 s0, 3, v11
	s_delay_alu instid0(VALU_DEP_4)
	v_and_b32_e32 v12, 7, v4
	s_wait_alu 0xfffd
	v_cndmask_b32_e64 v2, 0, 1, vcc_lo
	v_cmp_ne_u32_e32 vcc_lo, 0, v6
	v_lshrrev_b32_e32 v4, 2, v4
	v_cmp_lt_i32_e64 s1, 5, v12
	v_cmp_eq_u32_e64 s2, 3, v12
	s_wait_alu 0xfffd
	v_cndmask_b32_e64 v6, 0, 1, vcc_lo
	v_cmp_lt_i32_e32 vcc_lo, 5, v11
	v_lshl_or_b32 v2, v2, 9, 0x7c00
	s_delay_alu instid0(VALU_DEP_3)
	v_lshl_or_b32 v6, v6, 9, 0x7c00
	s_or_b32 vcc_lo, s0, vcc_lo
	s_wait_alu 0xfffe
	v_add_co_ci_u32_e32 v9, vcc_lo, 0, v9, vcc_lo
	s_or_b32 vcc_lo, s2, s1
	s_wait_alu 0xfffe
	v_add_co_ci_u32_e32 v4, vcc_lo, 0, v4, vcc_lo
	v_cmp_gt_i32_e32 vcc_lo, 31, v8
	s_wait_alu 0xfffd
	v_cndmask_b32_e32 v9, 0x7c00, v9, vcc_lo
	v_cmp_gt_i32_e32 vcc_lo, 31, v10
	s_wait_alu 0xfffd
	v_cndmask_b32_e32 v4, 0x7c00, v4, vcc_lo
	v_cmp_eq_u32_e32 vcc_lo, 0x40f, v8
	s_wait_alu 0xfffd
	v_cndmask_b32_e32 v2, v9, v2, vcc_lo
	v_cmp_eq_u32_e32 vcc_lo, 0x40f, v10
	s_delay_alu instid0(VALU_DEP_2)
	v_and_or_b32 v2, 0x8000, v5, v2
	s_wait_alu 0xfffd
	v_cndmask_b32_e32 v4, v4, v6, vcc_lo
	v_add_co_u32 v0, vcc_lo, v0, s6
	s_wait_alu 0xfffd
	v_add_co_ci_u32_e32 v1, vcc_lo, s7, v1, vcc_lo
	s_delay_alu instid0(VALU_DEP_3) | instskip(SKIP_1) | instid1(VALU_DEP_1)
	v_and_or_b32 v4, 0x8000, v7, v4
	v_and_b32_e32 v2, 0xffff, v2
	v_lshl_or_b32 v2, v4, 16, v2
	v_lshrrev_b32_e32 v4, 16, v3
	global_store_b32 v[0:1], v2, off
	global_load_b32 v2, v[21:22], off offset:1316
	s_wait_loadcnt 0x0
	v_lshrrev_b32_e32 v5, 16, v2
	s_delay_alu instid0(VALU_DEP_1) | instskip(SKIP_1) | instid1(VALU_DEP_2)
	v_mul_f16_e32 v6, v4, v5
	v_mul_f16_e32 v5, v3, v5
	v_fmac_f16_e32 v6, v3, v2
	s_delay_alu instid0(VALU_DEP_2) | instskip(NEXT) | instid1(VALU_DEP_2)
	v_fma_f16 v2, v2, v4, -v5
	v_cvt_f32_f16_e32 v3, v6
	s_delay_alu instid0(VALU_DEP_2) | instskip(NEXT) | instid1(VALU_DEP_2)
	v_cvt_f32_f16_e32 v4, v2
	v_cvt_f64_f32_e32 v[2:3], v3
	s_delay_alu instid0(VALU_DEP_2) | instskip(NEXT) | instid1(VALU_DEP_2)
	v_cvt_f64_f32_e32 v[4:5], v4
	v_mul_f64_e32 v[2:3], s[8:9], v[2:3]
	s_delay_alu instid0(VALU_DEP_2) | instskip(NEXT) | instid1(VALU_DEP_2)
	v_mul_f64_e32 v[4:5], s[8:9], v[4:5]
	v_and_or_b32 v2, 0x1ff, v3, v2
	s_delay_alu instid0(VALU_DEP_2)
	v_and_or_b32 v4, 0x1ff, v5, v4
	v_lshrrev_b32_e32 v6, 8, v3
	v_bfe_u32 v7, v3, 20, 11
	v_lshrrev_b32_e32 v8, 8, v5
	v_cmp_ne_u32_e32 vcc_lo, 0, v2
	v_bfe_u32 v9, v5, 20, 11
	v_lshrrev_b32_e32 v3, 16, v3
	v_sub_nc_u32_e32 v10, 0x3f1, v7
	v_add_nc_u32_e32 v7, 0xfffffc10, v7
	s_wait_alu 0xfffd
	v_cndmask_b32_e64 v2, 0, 1, vcc_lo
	v_cmp_ne_u32_e32 vcc_lo, 0, v4
	v_lshrrev_b32_e32 v5, 16, v5
	s_delay_alu instid0(VALU_DEP_3) | instskip(SKIP_4) | instid1(VALU_DEP_3)
	v_and_or_b32 v2, 0xffe, v6, v2
	s_wait_alu 0xfffd
	v_cndmask_b32_e64 v4, 0, 1, vcc_lo
	v_sub_nc_u32_e32 v6, 0x3f1, v9
	v_add_nc_u32_e32 v9, 0xfffffc10, v9
	v_and_or_b32 v4, 0xffe, v8, v4
	v_med3_i32 v8, v10, 0, 13
	v_or_b32_e32 v10, 0x1000, v2
	v_med3_i32 v6, v6, 0, 13
	s_delay_alu instid0(VALU_DEP_4) | instskip(NEXT) | instid1(VALU_DEP_3)
	v_or_b32_e32 v11, 0x1000, v4
	v_lshrrev_b32_e32 v12, v8, v10
	s_delay_alu instid0(VALU_DEP_2) | instskip(NEXT) | instid1(VALU_DEP_2)
	v_lshrrev_b32_e32 v13, v6, v11
	v_lshlrev_b32_e32 v8, v8, v12
	s_delay_alu instid0(VALU_DEP_2) | instskip(NEXT) | instid1(VALU_DEP_2)
	v_lshlrev_b32_e32 v6, v6, v13
	v_cmp_ne_u32_e32 vcc_lo, v8, v10
	v_lshl_or_b32 v10, v7, 12, v2
	s_wait_alu 0xfffd
	v_cndmask_b32_e64 v8, 0, 1, vcc_lo
	v_cmp_ne_u32_e32 vcc_lo, v6, v11
	v_lshl_or_b32 v11, v9, 12, v4
	s_delay_alu instid0(VALU_DEP_3) | instskip(SKIP_3) | instid1(VALU_DEP_2)
	v_or_b32_e32 v8, v12, v8
	s_wait_alu 0xfffd
	v_cndmask_b32_e64 v6, 0, 1, vcc_lo
	v_cmp_gt_i32_e32 vcc_lo, 1, v7
	v_or_b32_e32 v6, v13, v6
	s_wait_alu 0xfffd
	v_cndmask_b32_e32 v8, v10, v8, vcc_lo
	v_cmp_gt_i32_e32 vcc_lo, 1, v9
	s_delay_alu instid0(VALU_DEP_2)
	v_and_b32_e32 v10, 7, v8
	s_wait_alu 0xfffd
	v_cndmask_b32_e32 v6, v11, v6, vcc_lo
	v_cmp_ne_u32_e32 vcc_lo, 0, v2
	v_lshrrev_b32_e32 v8, 2, v8
	v_cmp_eq_u32_e64 s0, 3, v10
	s_delay_alu instid0(VALU_DEP_4)
	v_and_b32_e32 v11, 7, v6
	s_wait_alu 0xfffd
	v_cndmask_b32_e64 v2, 0, 1, vcc_lo
	v_cmp_ne_u32_e32 vcc_lo, 0, v4
	v_lshrrev_b32_e32 v6, 2, v6
	v_cmp_lt_i32_e64 s1, 5, v11
	v_cmp_eq_u32_e64 s2, 3, v11
	s_wait_alu 0xfffd
	v_cndmask_b32_e64 v4, 0, 1, vcc_lo
	v_cmp_lt_i32_e32 vcc_lo, 5, v10
	v_lshl_or_b32 v2, v2, 9, 0x7c00
	s_delay_alu instid0(VALU_DEP_3)
	v_lshl_or_b32 v4, v4, 9, 0x7c00
	s_or_b32 vcc_lo, s0, vcc_lo
	s_wait_alu 0xfffe
	v_add_co_ci_u32_e32 v8, vcc_lo, 0, v8, vcc_lo
	s_or_b32 vcc_lo, s2, s1
	s_wait_alu 0xfffe
	v_add_co_ci_u32_e32 v6, vcc_lo, 0, v6, vcc_lo
	v_cmp_gt_i32_e32 vcc_lo, 31, v7
	s_wait_alu 0xfffd
	v_cndmask_b32_e32 v8, 0x7c00, v8, vcc_lo
	v_cmp_gt_i32_e32 vcc_lo, 31, v9
	s_wait_alu 0xfffd
	v_cndmask_b32_e32 v6, 0x7c00, v6, vcc_lo
	v_cmp_eq_u32_e32 vcc_lo, 0x40f, v7
	s_wait_alu 0xfffd
	v_cndmask_b32_e32 v2, v8, v2, vcc_lo
	v_cmp_eq_u32_e32 vcc_lo, 0x40f, v9
	s_delay_alu instid0(VALU_DEP_2)
	v_and_or_b32 v2, 0x8000, v3, v2
	s_wait_alu 0xfffd
	v_cndmask_b32_e32 v4, v6, v4, vcc_lo
	v_add_co_u32 v0, vcc_lo, v0, s6
	s_wait_alu 0xfffd
	v_add_co_ci_u32_e32 v1, vcc_lo, s7, v1, vcc_lo
	s_delay_alu instid0(VALU_DEP_3) | instskip(SKIP_1) | instid1(VALU_DEP_1)
	v_and_or_b32 v3, 0x8000, v5, v4
	v_and_b32_e32 v2, 0xffff, v2
	v_lshl_or_b32 v2, v3, 16, v2
	global_store_b32 v[0:1], v2, off
	global_load_b32 v4, v[21:22], off offset:1412
	ds_load_2addr_b32 v[2:3], v24 offset0:97 offset1:121
	s_wait_dscnt 0x0
	v_lshrrev_b32_e32 v5, 16, v2
	s_wait_loadcnt 0x0
	v_lshrrev_b32_e32 v6, 16, v4
	s_delay_alu instid0(VALU_DEP_1) | instskip(SKIP_1) | instid1(VALU_DEP_2)
	v_mul_f16_e32 v7, v5, v6
	v_mul_f16_e32 v6, v2, v6
	v_fmac_f16_e32 v7, v2, v4
	s_delay_alu instid0(VALU_DEP_2) | instskip(NEXT) | instid1(VALU_DEP_2)
	v_fma_f16 v2, v4, v5, -v6
	v_cvt_f32_f16_e32 v4, v7
	s_delay_alu instid0(VALU_DEP_2) | instskip(NEXT) | instid1(VALU_DEP_2)
	v_cvt_f32_f16_e32 v2, v2
	v_cvt_f64_f32_e32 v[4:5], v4
	s_delay_alu instid0(VALU_DEP_2) | instskip(NEXT) | instid1(VALU_DEP_2)
	v_cvt_f64_f32_e32 v[6:7], v2
	v_mul_f64_e32 v[4:5], s[8:9], v[4:5]
	s_delay_alu instid0(VALU_DEP_2) | instskip(NEXT) | instid1(VALU_DEP_2)
	v_mul_f64_e32 v[6:7], s[8:9], v[6:7]
	v_and_or_b32 v2, 0x1ff, v5, v4
	s_delay_alu instid0(VALU_DEP_2)
	v_and_or_b32 v6, 0x1ff, v7, v6
	v_lshrrev_b32_e32 v4, 8, v5
	v_bfe_u32 v8, v5, 20, 11
	v_lshrrev_b32_e32 v9, 8, v7
	v_cmp_ne_u32_e32 vcc_lo, 0, v2
	v_bfe_u32 v10, v7, 20, 11
	v_lshrrev_b32_e32 v5, 16, v5
	v_sub_nc_u32_e32 v11, 0x3f1, v8
	v_add_nc_u32_e32 v8, 0xfffffc10, v8
	s_wait_alu 0xfffd
	v_cndmask_b32_e64 v2, 0, 1, vcc_lo
	v_cmp_ne_u32_e32 vcc_lo, 0, v6
	v_lshrrev_b32_e32 v7, 16, v7
	s_delay_alu instid0(VALU_DEP_3) | instskip(SKIP_4) | instid1(VALU_DEP_3)
	v_and_or_b32 v2, 0xffe, v4, v2
	s_wait_alu 0xfffd
	v_cndmask_b32_e64 v6, 0, 1, vcc_lo
	v_sub_nc_u32_e32 v4, 0x3f1, v10
	v_add_nc_u32_e32 v10, 0xfffffc10, v10
	v_and_or_b32 v6, 0xffe, v9, v6
	v_med3_i32 v9, v11, 0, 13
	v_or_b32_e32 v11, 0x1000, v2
	v_med3_i32 v4, v4, 0, 13
	s_delay_alu instid0(VALU_DEP_4) | instskip(NEXT) | instid1(VALU_DEP_3)
	v_or_b32_e32 v12, 0x1000, v6
	v_lshrrev_b32_e32 v13, v9, v11
	s_delay_alu instid0(VALU_DEP_2) | instskip(NEXT) | instid1(VALU_DEP_2)
	v_lshrrev_b32_e32 v14, v4, v12
	v_lshlrev_b32_e32 v9, v9, v13
	s_delay_alu instid0(VALU_DEP_2) | instskip(NEXT) | instid1(VALU_DEP_2)
	v_lshlrev_b32_e32 v4, v4, v14
	v_cmp_ne_u32_e32 vcc_lo, v9, v11
	v_lshl_or_b32 v11, v8, 12, v2
	s_wait_alu 0xfffd
	v_cndmask_b32_e64 v9, 0, 1, vcc_lo
	v_cmp_ne_u32_e32 vcc_lo, v4, v12
	v_lshl_or_b32 v12, v10, 12, v6
	s_delay_alu instid0(VALU_DEP_3) | instskip(SKIP_3) | instid1(VALU_DEP_2)
	v_or_b32_e32 v9, v13, v9
	s_wait_alu 0xfffd
	v_cndmask_b32_e64 v4, 0, 1, vcc_lo
	v_cmp_gt_i32_e32 vcc_lo, 1, v8
	v_or_b32_e32 v4, v14, v4
	s_wait_alu 0xfffd
	v_cndmask_b32_e32 v9, v11, v9, vcc_lo
	v_cmp_gt_i32_e32 vcc_lo, 1, v10
	s_wait_alu 0xfffd
	s_delay_alu instid0(VALU_DEP_2) | instskip(SKIP_2) | instid1(VALU_DEP_3)
	v_dual_cndmask_b32 v4, v12, v4 :: v_dual_and_b32 v11, 7, v9
	v_cmp_ne_u32_e32 vcc_lo, 0, v2
	v_lshrrev_b32_e32 v9, 2, v9
	v_cmp_eq_u32_e64 s0, 3, v11
	s_delay_alu instid0(VALU_DEP_4)
	v_and_b32_e32 v12, 7, v4
	s_wait_alu 0xfffd
	v_cndmask_b32_e64 v2, 0, 1, vcc_lo
	v_cmp_ne_u32_e32 vcc_lo, 0, v6
	v_lshrrev_b32_e32 v4, 2, v4
	v_cmp_lt_i32_e64 s1, 5, v12
	v_cmp_eq_u32_e64 s2, 3, v12
	s_wait_alu 0xfffd
	v_cndmask_b32_e64 v6, 0, 1, vcc_lo
	v_cmp_lt_i32_e32 vcc_lo, 5, v11
	v_lshl_or_b32 v2, v2, 9, 0x7c00
	s_delay_alu instid0(VALU_DEP_3)
	v_lshl_or_b32 v6, v6, 9, 0x7c00
	s_or_b32 vcc_lo, s0, vcc_lo
	s_wait_alu 0xfffe
	v_add_co_ci_u32_e32 v9, vcc_lo, 0, v9, vcc_lo
	s_or_b32 vcc_lo, s2, s1
	s_wait_alu 0xfffe
	v_add_co_ci_u32_e32 v4, vcc_lo, 0, v4, vcc_lo
	v_cmp_gt_i32_e32 vcc_lo, 31, v8
	s_wait_alu 0xfffd
	v_cndmask_b32_e32 v9, 0x7c00, v9, vcc_lo
	v_cmp_gt_i32_e32 vcc_lo, 31, v10
	s_wait_alu 0xfffd
	v_cndmask_b32_e32 v4, 0x7c00, v4, vcc_lo
	v_cmp_eq_u32_e32 vcc_lo, 0x40f, v8
	s_wait_alu 0xfffd
	v_cndmask_b32_e32 v2, v9, v2, vcc_lo
	v_cmp_eq_u32_e32 vcc_lo, 0x40f, v10
	s_delay_alu instid0(VALU_DEP_2)
	v_and_or_b32 v2, 0x8000, v5, v2
	s_wait_alu 0xfffd
	v_cndmask_b32_e32 v4, v4, v6, vcc_lo
	v_add_co_u32 v0, vcc_lo, v0, s6
	s_wait_alu 0xfffd
	v_add_co_ci_u32_e32 v1, vcc_lo, s7, v1, vcc_lo
	s_delay_alu instid0(VALU_DEP_3) | instskip(SKIP_1) | instid1(VALU_DEP_1)
	v_and_or_b32 v4, 0x8000, v7, v4
	v_and_b32_e32 v2, 0xffff, v2
	v_lshl_or_b32 v2, v4, 16, v2
	v_lshrrev_b32_e32 v4, 16, v3
	global_store_b32 v[0:1], v2, off
	global_load_b32 v2, v[21:22], off offset:1508
	s_wait_loadcnt 0x0
	v_lshrrev_b32_e32 v5, 16, v2
	s_delay_alu instid0(VALU_DEP_1) | instskip(SKIP_1) | instid1(VALU_DEP_2)
	v_mul_f16_e32 v6, v4, v5
	v_mul_f16_e32 v5, v3, v5
	v_fmac_f16_e32 v6, v3, v2
	s_delay_alu instid0(VALU_DEP_2) | instskip(NEXT) | instid1(VALU_DEP_2)
	v_fma_f16 v2, v2, v4, -v5
	v_cvt_f32_f16_e32 v3, v6
	s_delay_alu instid0(VALU_DEP_2) | instskip(NEXT) | instid1(VALU_DEP_2)
	v_cvt_f32_f16_e32 v4, v2
	v_cvt_f64_f32_e32 v[2:3], v3
	s_delay_alu instid0(VALU_DEP_2) | instskip(NEXT) | instid1(VALU_DEP_2)
	v_cvt_f64_f32_e32 v[4:5], v4
	v_mul_f64_e32 v[2:3], s[8:9], v[2:3]
	s_delay_alu instid0(VALU_DEP_2) | instskip(NEXT) | instid1(VALU_DEP_2)
	v_mul_f64_e32 v[4:5], s[8:9], v[4:5]
	v_and_or_b32 v2, 0x1ff, v3, v2
	s_delay_alu instid0(VALU_DEP_2)
	v_and_or_b32 v4, 0x1ff, v5, v4
	v_lshrrev_b32_e32 v6, 8, v3
	v_bfe_u32 v7, v3, 20, 11
	v_lshrrev_b32_e32 v8, 8, v5
	v_cmp_ne_u32_e32 vcc_lo, 0, v2
	v_bfe_u32 v9, v5, 20, 11
	v_lshrrev_b32_e32 v3, 16, v3
	v_sub_nc_u32_e32 v10, 0x3f1, v7
	v_add_nc_u32_e32 v7, 0xfffffc10, v7
	s_wait_alu 0xfffd
	v_cndmask_b32_e64 v2, 0, 1, vcc_lo
	v_cmp_ne_u32_e32 vcc_lo, 0, v4
	v_lshrrev_b32_e32 v5, 16, v5
	s_delay_alu instid0(VALU_DEP_3) | instskip(SKIP_4) | instid1(VALU_DEP_3)
	v_and_or_b32 v2, 0xffe, v6, v2
	s_wait_alu 0xfffd
	v_cndmask_b32_e64 v4, 0, 1, vcc_lo
	v_sub_nc_u32_e32 v6, 0x3f1, v9
	v_add_nc_u32_e32 v9, 0xfffffc10, v9
	v_and_or_b32 v4, 0xffe, v8, v4
	v_med3_i32 v8, v10, 0, 13
	v_or_b32_e32 v10, 0x1000, v2
	v_med3_i32 v6, v6, 0, 13
	s_delay_alu instid0(VALU_DEP_4) | instskip(NEXT) | instid1(VALU_DEP_3)
	v_or_b32_e32 v11, 0x1000, v4
	v_lshrrev_b32_e32 v12, v8, v10
	s_delay_alu instid0(VALU_DEP_2) | instskip(NEXT) | instid1(VALU_DEP_2)
	v_lshrrev_b32_e32 v13, v6, v11
	v_lshlrev_b32_e32 v8, v8, v12
	s_delay_alu instid0(VALU_DEP_2) | instskip(NEXT) | instid1(VALU_DEP_2)
	v_lshlrev_b32_e32 v6, v6, v13
	v_cmp_ne_u32_e32 vcc_lo, v8, v10
	v_lshl_or_b32 v10, v7, 12, v2
	s_wait_alu 0xfffd
	v_cndmask_b32_e64 v8, 0, 1, vcc_lo
	v_cmp_ne_u32_e32 vcc_lo, v6, v11
	v_lshl_or_b32 v11, v9, 12, v4
	s_delay_alu instid0(VALU_DEP_3) | instskip(SKIP_3) | instid1(VALU_DEP_2)
	v_or_b32_e32 v8, v12, v8
	s_wait_alu 0xfffd
	v_cndmask_b32_e64 v6, 0, 1, vcc_lo
	v_cmp_gt_i32_e32 vcc_lo, 1, v7
	v_or_b32_e32 v6, v13, v6
	s_wait_alu 0xfffd
	v_cndmask_b32_e32 v8, v10, v8, vcc_lo
	v_cmp_gt_i32_e32 vcc_lo, 1, v9
	s_delay_alu instid0(VALU_DEP_2)
	v_and_b32_e32 v10, 7, v8
	s_wait_alu 0xfffd
	v_cndmask_b32_e32 v6, v11, v6, vcc_lo
	v_cmp_ne_u32_e32 vcc_lo, 0, v2
	v_lshrrev_b32_e32 v8, 2, v8
	v_cmp_eq_u32_e64 s0, 3, v10
	s_delay_alu instid0(VALU_DEP_4)
	v_and_b32_e32 v11, 7, v6
	s_wait_alu 0xfffd
	v_cndmask_b32_e64 v2, 0, 1, vcc_lo
	v_cmp_ne_u32_e32 vcc_lo, 0, v4
	v_lshrrev_b32_e32 v6, 2, v6
	v_cmp_lt_i32_e64 s1, 5, v11
	v_cmp_eq_u32_e64 s2, 3, v11
	s_wait_alu 0xfffd
	v_cndmask_b32_e64 v4, 0, 1, vcc_lo
	v_cmp_lt_i32_e32 vcc_lo, 5, v10
	v_lshl_or_b32 v2, v2, 9, 0x7c00
	s_delay_alu instid0(VALU_DEP_3)
	v_lshl_or_b32 v4, v4, 9, 0x7c00
	s_or_b32 vcc_lo, s0, vcc_lo
	s_wait_alu 0xfffe
	v_add_co_ci_u32_e32 v8, vcc_lo, 0, v8, vcc_lo
	s_or_b32 vcc_lo, s2, s1
	s_wait_alu 0xfffe
	v_add_co_ci_u32_e32 v6, vcc_lo, 0, v6, vcc_lo
	v_cmp_gt_i32_e32 vcc_lo, 31, v7
	s_wait_alu 0xfffd
	v_cndmask_b32_e32 v8, 0x7c00, v8, vcc_lo
	v_cmp_gt_i32_e32 vcc_lo, 31, v9
	s_wait_alu 0xfffd
	v_cndmask_b32_e32 v6, 0x7c00, v6, vcc_lo
	v_cmp_eq_u32_e32 vcc_lo, 0x40f, v7
	s_wait_alu 0xfffd
	v_cndmask_b32_e32 v2, v8, v2, vcc_lo
	v_cmp_eq_u32_e32 vcc_lo, 0x40f, v9
	s_delay_alu instid0(VALU_DEP_2)
	v_and_or_b32 v2, 0x8000, v3, v2
	s_wait_alu 0xfffd
	v_cndmask_b32_e32 v4, v6, v4, vcc_lo
	v_add_co_u32 v0, vcc_lo, v0, s6
	s_wait_alu 0xfffd
	v_add_co_ci_u32_e32 v1, vcc_lo, s7, v1, vcc_lo
	s_delay_alu instid0(VALU_DEP_3) | instskip(SKIP_1) | instid1(VALU_DEP_1)
	v_and_or_b32 v3, 0x8000, v5, v4
	v_and_b32_e32 v2, 0xffff, v2
	v_lshl_or_b32 v2, v3, 16, v2
	ds_load_b32 v3, v70 offset:1604
	global_store_b32 v[0:1], v2, off
	global_load_b32 v2, v[21:22], off offset:1604
	s_wait_dscnt 0x0
	v_lshrrev_b32_e32 v4, 16, v3
	s_wait_loadcnt 0x0
	v_lshrrev_b32_e32 v5, 16, v2
	s_delay_alu instid0(VALU_DEP_1) | instskip(SKIP_1) | instid1(VALU_DEP_2)
	v_mul_f16_e32 v6, v4, v5
	v_mul_f16_e32 v5, v3, v5
	v_fmac_f16_e32 v6, v3, v2
	s_delay_alu instid0(VALU_DEP_2) | instskip(NEXT) | instid1(VALU_DEP_2)
	v_fma_f16 v2, v2, v4, -v5
	v_cvt_f32_f16_e32 v3, v6
	s_delay_alu instid0(VALU_DEP_2) | instskip(NEXT) | instid1(VALU_DEP_2)
	v_cvt_f32_f16_e32 v4, v2
	v_cvt_f64_f32_e32 v[2:3], v3
	s_delay_alu instid0(VALU_DEP_2) | instskip(NEXT) | instid1(VALU_DEP_2)
	v_cvt_f64_f32_e32 v[4:5], v4
	v_mul_f64_e32 v[2:3], s[8:9], v[2:3]
	s_delay_alu instid0(VALU_DEP_2) | instskip(NEXT) | instid1(VALU_DEP_2)
	v_mul_f64_e32 v[4:5], s[8:9], v[4:5]
	v_and_or_b32 v2, 0x1ff, v3, v2
	s_delay_alu instid0(VALU_DEP_2)
	v_and_or_b32 v4, 0x1ff, v5, v4
	v_lshrrev_b32_e32 v6, 8, v3
	v_bfe_u32 v7, v3, 20, 11
	v_lshrrev_b32_e32 v8, 8, v5
	v_cmp_ne_u32_e32 vcc_lo, 0, v2
	v_bfe_u32 v9, v5, 20, 11
	v_lshrrev_b32_e32 v3, 16, v3
	v_sub_nc_u32_e32 v10, 0x3f1, v7
	v_add_nc_u32_e32 v7, 0xfffffc10, v7
	s_wait_alu 0xfffd
	v_cndmask_b32_e64 v2, 0, 1, vcc_lo
	v_cmp_ne_u32_e32 vcc_lo, 0, v4
	v_lshrrev_b32_e32 v5, 16, v5
	s_delay_alu instid0(VALU_DEP_3) | instskip(SKIP_4) | instid1(VALU_DEP_3)
	v_and_or_b32 v2, 0xffe, v6, v2
	s_wait_alu 0xfffd
	v_cndmask_b32_e64 v4, 0, 1, vcc_lo
	v_sub_nc_u32_e32 v6, 0x3f1, v9
	v_add_nc_u32_e32 v9, 0xfffffc10, v9
	v_and_or_b32 v4, 0xffe, v8, v4
	v_med3_i32 v8, v10, 0, 13
	v_or_b32_e32 v10, 0x1000, v2
	v_med3_i32 v6, v6, 0, 13
	s_delay_alu instid0(VALU_DEP_4) | instskip(NEXT) | instid1(VALU_DEP_3)
	v_or_b32_e32 v11, 0x1000, v4
	v_lshrrev_b32_e32 v12, v8, v10
	s_delay_alu instid0(VALU_DEP_2) | instskip(NEXT) | instid1(VALU_DEP_2)
	v_lshrrev_b32_e32 v13, v6, v11
	v_lshlrev_b32_e32 v8, v8, v12
	s_delay_alu instid0(VALU_DEP_2) | instskip(NEXT) | instid1(VALU_DEP_2)
	v_lshlrev_b32_e32 v6, v6, v13
	v_cmp_ne_u32_e32 vcc_lo, v8, v10
	v_lshl_or_b32 v10, v7, 12, v2
	s_wait_alu 0xfffd
	v_cndmask_b32_e64 v8, 0, 1, vcc_lo
	v_cmp_ne_u32_e32 vcc_lo, v6, v11
	v_lshl_or_b32 v11, v9, 12, v4
	s_delay_alu instid0(VALU_DEP_3) | instskip(SKIP_3) | instid1(VALU_DEP_2)
	v_or_b32_e32 v8, v12, v8
	s_wait_alu 0xfffd
	v_cndmask_b32_e64 v6, 0, 1, vcc_lo
	v_cmp_gt_i32_e32 vcc_lo, 1, v7
	v_or_b32_e32 v6, v13, v6
	s_wait_alu 0xfffd
	v_cndmask_b32_e32 v8, v10, v8, vcc_lo
	v_cmp_gt_i32_e32 vcc_lo, 1, v9
	s_delay_alu instid0(VALU_DEP_2)
	v_and_b32_e32 v10, 7, v8
	s_wait_alu 0xfffd
	v_cndmask_b32_e32 v6, v11, v6, vcc_lo
	v_cmp_ne_u32_e32 vcc_lo, 0, v2
	v_lshrrev_b32_e32 v8, 2, v8
	v_cmp_eq_u32_e64 s0, 3, v10
	s_delay_alu instid0(VALU_DEP_4)
	v_and_b32_e32 v11, 7, v6
	s_wait_alu 0xfffd
	v_cndmask_b32_e64 v2, 0, 1, vcc_lo
	v_cmp_ne_u32_e32 vcc_lo, 0, v4
	v_lshrrev_b32_e32 v6, 2, v6
	v_cmp_lt_i32_e64 s1, 5, v11
	v_cmp_eq_u32_e64 s2, 3, v11
	s_wait_alu 0xfffd
	v_cndmask_b32_e64 v4, 0, 1, vcc_lo
	v_cmp_lt_i32_e32 vcc_lo, 5, v10
	v_lshl_or_b32 v2, v2, 9, 0x7c00
	s_delay_alu instid0(VALU_DEP_3)
	v_lshl_or_b32 v4, v4, 9, 0x7c00
	s_or_b32 vcc_lo, s0, vcc_lo
	s_wait_alu 0xfffe
	v_add_co_ci_u32_e32 v8, vcc_lo, 0, v8, vcc_lo
	s_or_b32 vcc_lo, s2, s1
	s_wait_alu 0xfffe
	v_add_co_ci_u32_e32 v6, vcc_lo, 0, v6, vcc_lo
	v_cmp_gt_i32_e32 vcc_lo, 31, v7
	s_wait_alu 0xfffd
	v_cndmask_b32_e32 v8, 0x7c00, v8, vcc_lo
	v_cmp_gt_i32_e32 vcc_lo, 31, v9
	s_wait_alu 0xfffd
	v_cndmask_b32_e32 v6, 0x7c00, v6, vcc_lo
	v_cmp_eq_u32_e32 vcc_lo, 0x40f, v7
	s_wait_alu 0xfffd
	v_cndmask_b32_e32 v2, v8, v2, vcc_lo
	v_cmp_eq_u32_e32 vcc_lo, 0x40f, v9
	s_delay_alu instid0(VALU_DEP_2)
	v_and_or_b32 v2, 0x8000, v3, v2
	s_wait_alu 0xfffd
	v_cndmask_b32_e32 v4, v6, v4, vcc_lo
	v_add_co_u32 v0, vcc_lo, v0, s6
	s_wait_alu 0xfffd
	v_add_co_ci_u32_e32 v1, vcc_lo, s7, v1, vcc_lo
	s_delay_alu instid0(VALU_DEP_3) | instskip(SKIP_1) | instid1(VALU_DEP_1)
	v_and_or_b32 v3, 0x8000, v5, v4
	v_and_b32_e32 v2, 0xffff, v2
	v_lshl_or_b32 v2, v3, 16, v2
	global_store_b32 v[0:1], v2, off
.LBB0_15:
	s_nop 0
	s_sendmsg sendmsg(MSG_DEALLOC_VGPRS)
	s_endpgm
	.section	.rodata,"a",@progbits
	.p2align	6, 0x0
	.amdhsa_kernel bluestein_single_fwd_len408_dim1_half_op_CI_CI
		.amdhsa_group_segment_fixed_size 4896
		.amdhsa_private_segment_fixed_size 144
		.amdhsa_kernarg_size 104
		.amdhsa_user_sgpr_count 2
		.amdhsa_user_sgpr_dispatch_ptr 0
		.amdhsa_user_sgpr_queue_ptr 0
		.amdhsa_user_sgpr_kernarg_segment_ptr 1
		.amdhsa_user_sgpr_dispatch_id 0
		.amdhsa_user_sgpr_private_segment_size 0
		.amdhsa_wavefront_size32 1
		.amdhsa_uses_dynamic_stack 0
		.amdhsa_enable_private_segment 1
		.amdhsa_system_sgpr_workgroup_id_x 1
		.amdhsa_system_sgpr_workgroup_id_y 0
		.amdhsa_system_sgpr_workgroup_id_z 0
		.amdhsa_system_sgpr_workgroup_info 0
		.amdhsa_system_vgpr_workitem_id 0
		.amdhsa_next_free_vgpr 256
		.amdhsa_next_free_sgpr 18
		.amdhsa_reserve_vcc 1
		.amdhsa_float_round_mode_32 0
		.amdhsa_float_round_mode_16_64 0
		.amdhsa_float_denorm_mode_32 3
		.amdhsa_float_denorm_mode_16_64 3
		.amdhsa_fp16_overflow 0
		.amdhsa_workgroup_processor_mode 1
		.amdhsa_memory_ordered 1
		.amdhsa_forward_progress 0
		.amdhsa_round_robin_scheduling 0
		.amdhsa_exception_fp_ieee_invalid_op 0
		.amdhsa_exception_fp_denorm_src 0
		.amdhsa_exception_fp_ieee_div_zero 0
		.amdhsa_exception_fp_ieee_overflow 0
		.amdhsa_exception_fp_ieee_underflow 0
		.amdhsa_exception_fp_ieee_inexact 0
		.amdhsa_exception_int_div_zero 0
	.end_amdhsa_kernel
	.text
.Lfunc_end0:
	.size	bluestein_single_fwd_len408_dim1_half_op_CI_CI, .Lfunc_end0-bluestein_single_fwd_len408_dim1_half_op_CI_CI
                                        ; -- End function
	.section	.AMDGPU.csdata,"",@progbits
; Kernel info:
; codeLenInByte = 67736
; NumSgprs: 20
; NumVgprs: 256
; ScratchSize: 144
; MemoryBound: 0
; FloatMode: 240
; IeeeMode: 1
; LDSByteSize: 4896 bytes/workgroup (compile time only)
; SGPRBlocks: 2
; VGPRBlocks: 31
; NumSGPRsForWavesPerEU: 20
; NumVGPRsForWavesPerEU: 256
; Occupancy: 5
; WaveLimiterHint : 1
; COMPUTE_PGM_RSRC2:SCRATCH_EN: 1
; COMPUTE_PGM_RSRC2:USER_SGPR: 2
; COMPUTE_PGM_RSRC2:TRAP_HANDLER: 0
; COMPUTE_PGM_RSRC2:TGID_X_EN: 1
; COMPUTE_PGM_RSRC2:TGID_Y_EN: 0
; COMPUTE_PGM_RSRC2:TGID_Z_EN: 0
; COMPUTE_PGM_RSRC2:TIDIG_COMP_CNT: 0
	.text
	.p2alignl 7, 3214868480
	.fill 96, 4, 3214868480
	.type	__hip_cuid_2990db8abf15c346,@object ; @__hip_cuid_2990db8abf15c346
	.section	.bss,"aw",@nobits
	.globl	__hip_cuid_2990db8abf15c346
__hip_cuid_2990db8abf15c346:
	.byte	0                               ; 0x0
	.size	__hip_cuid_2990db8abf15c346, 1

	.ident	"AMD clang version 19.0.0git (https://github.com/RadeonOpenCompute/llvm-project roc-6.4.0 25133 c7fe45cf4b819c5991fe208aaa96edf142730f1d)"
	.section	".note.GNU-stack","",@progbits
	.addrsig
	.addrsig_sym __hip_cuid_2990db8abf15c346
	.amdgpu_metadata
---
amdhsa.kernels:
  - .args:
      - .actual_access:  read_only
        .address_space:  global
        .offset:         0
        .size:           8
        .value_kind:     global_buffer
      - .actual_access:  read_only
        .address_space:  global
        .offset:         8
        .size:           8
        .value_kind:     global_buffer
      - .actual_access:  read_only
        .address_space:  global
        .offset:         16
        .size:           8
        .value_kind:     global_buffer
      - .actual_access:  read_only
        .address_space:  global
        .offset:         24
        .size:           8
        .value_kind:     global_buffer
      - .actual_access:  read_only
        .address_space:  global
        .offset:         32
        .size:           8
        .value_kind:     global_buffer
      - .offset:         40
        .size:           8
        .value_kind:     by_value
      - .address_space:  global
        .offset:         48
        .size:           8
        .value_kind:     global_buffer
      - .address_space:  global
        .offset:         56
        .size:           8
        .value_kind:     global_buffer
      - .address_space:  global
        .offset:         64
        .size:           8
        .value_kind:     global_buffer
      - .address_space:  global
        .offset:         72
        .size:           8
        .value_kind:     global_buffer
      - .offset:         80
        .size:           4
        .value_kind:     by_value
      - .address_space:  global
        .offset:         88
        .size:           8
        .value_kind:     global_buffer
      - .address_space:  global
        .offset:         96
        .size:           8
        .value_kind:     global_buffer
    .group_segment_fixed_size: 4896
    .kernarg_segment_align: 8
    .kernarg_segment_size: 104
    .language:       OpenCL C
    .language_version:
      - 2
      - 0
    .max_flat_workgroup_size: 51
    .name:           bluestein_single_fwd_len408_dim1_half_op_CI_CI
    .private_segment_fixed_size: 144
    .sgpr_count:     20
    .sgpr_spill_count: 0
    .symbol:         bluestein_single_fwd_len408_dim1_half_op_CI_CI.kd
    .uniform_work_group_size: 1
    .uses_dynamic_stack: false
    .vgpr_count:     256
    .vgpr_spill_count: 41
    .wavefront_size: 32
    .workgroup_processor_mode: 1
amdhsa.target:   amdgcn-amd-amdhsa--gfx1201
amdhsa.version:
  - 1
  - 2
...

	.end_amdgpu_metadata
